;; amdgpu-corpus repo=ROCm/rocFFT kind=compiled arch=gfx1030 opt=O3
	.text
	.amdgcn_target "amdgcn-amd-amdhsa--gfx1030"
	.amdhsa_code_object_version 6
	.protected	bluestein_single_fwd_len945_dim1_dp_op_CI_CI ; -- Begin function bluestein_single_fwd_len945_dim1_dp_op_CI_CI
	.globl	bluestein_single_fwd_len945_dim1_dp_op_CI_CI
	.p2align	8
	.type	bluestein_single_fwd_len945_dim1_dp_op_CI_CI,@function
bluestein_single_fwd_len945_dim1_dp_op_CI_CI: ; @bluestein_single_fwd_len945_dim1_dp_op_CI_CI
; %bb.0:
	s_load_dwordx4 s[8:11], s[4:5], 0x28
	v_mul_u32_u24_e32 v1, 0x411, v0
	s_mov_b64 s[30:31], s[2:3]
	s_mov_b64 s[28:29], s[0:1]
	v_mov_b32_e32 v5, 0
	s_add_u32 s28, s28, s7
	v_lshrrev_b32_e32 v1, 16, v1
	s_addc_u32 s29, s29, 0
	s_mov_b32 s0, exec_lo
	v_add_nc_u32_e32 v4, s6, v1
	s_waitcnt lgkmcnt(0)
	v_cmpx_gt_u64_e64 s[8:9], v[4:5]
	s_cbranch_execz .LBB0_10
; %bb.1:
	s_clause 0x1
	s_load_dwordx4 s[0:3], s[4:5], 0x18
	s_load_dwordx4 s[12:15], s[4:5], 0x0
	v_mul_lo_u16 v1, v1, 63
	v_mov_b32_e32 v5, v4
                                        ; implicit-def: $vgpr176_vgpr177
                                        ; implicit-def: $vgpr180_vgpr181
	v_sub_nc_u16 v26, v0, v1
	v_and_b32_e32 v89, 0xffff, v26
	v_lshlrev_b32_e32 v104, 4, v89
	s_waitcnt lgkmcnt(0)
	s_load_dwordx4 s[16:19], s[0:1], 0x0
	buffer_store_dword v5, off, s[28:31], 0 offset:52 ; 4-byte Folded Spill
	buffer_store_dword v6, off, s[28:31], 0 offset:56 ; 4-byte Folded Spill
	v_add_co_u32 v27, s0, s12, v104
	v_add_co_ci_u32_e64 v28, null, s13, 0, s0
	global_load_dwordx4 v[65:68], v104, s[12:13]
	s_waitcnt lgkmcnt(0)
	v_mad_u64_u32 v[0:1], null, s18, v4, 0
	v_mad_u64_u32 v[2:3], null, s16, v89, 0
	s_mul_i32 s0, s17, 0x13b0
	s_mul_hi_u32 s6, s16, 0x13b0
	s_mul_i32 s1, s16, 0x13b0
	s_add_i32 s0, s6, s0
	s_mul_hi_u32 s6, s16, 0xffffdc90
	s_mul_i32 s8, s17, 0xffffdc90
	v_mad_u64_u32 v[4:5], null, s19, v4, v[1:2]
	s_sub_i32 s6, s6, s16
	s_mul_i32 s7, s16, 0xffffdc90
	s_add_i32 s6, s6, s8
	s_mov_b32 s18, 0x372fe950
	s_mov_b32 s19, 0x3fd3c6ef
	v_mad_u64_u32 v[5:6], null, s17, v89, v[3:4]
	v_mov_b32_e32 v1, v4
	s_mov_b32 s16, 0x134454ff
	s_mov_b32 s17, 0x3fee6f0e
	v_lshlrev_b64 v[0:1], 4, v[0:1]
	v_mov_b32_e32 v3, v5
	v_add_co_u32 v0, vcc_lo, s10, v0
	v_lshlrev_b64 v[2:3], 4, v[2:3]
	v_add_co_ci_u32_e32 v1, vcc_lo, s11, v1, vcc_lo
	v_add_co_u32 v4, vcc_lo, v0, v2
	v_add_co_ci_u32_e32 v5, vcc_lo, v1, v3, vcc_lo
	v_add_co_u32 v12, vcc_lo, 0x1000, v27
	v_add_co_ci_u32_e32 v13, vcc_lo, 0, v28, vcc_lo
	global_load_dwordx4 v[0:3], v[4:5], off
	v_add_co_u32 v4, vcc_lo, v4, s1
	v_add_co_ci_u32_e32 v5, vcc_lo, s0, v5, vcc_lo
	v_add_co_u32 v20, vcc_lo, 0x2000, v27
	v_add_co_ci_u32_e32 v21, vcc_lo, 0, v28, vcc_lo
	;; [unrolled: 2-line block ×3, first 2 shown]
	global_load_dwordx4 v[77:80], v[12:13], off offset:944
	global_load_dwordx4 v[4:7], v[4:5], off
	global_load_dwordx4 v[73:76], v[20:21], off offset:1888
	global_load_dwordx4 v[8:11], v[14:15], off
	v_add_co_u32 v14, vcc_lo, v14, s7
	v_add_co_ci_u32_e32 v15, vcc_lo, s6, v15, vcc_lo
	global_load_dwordx4 v[81:84], v104, s[12:13] offset:1008
	v_add_co_u32 v24, vcc_lo, v14, s1
	v_add_co_ci_u32_e32 v25, vcc_lo, s0, v15, vcc_lo
	v_add_co_u32 v22, vcc_lo, 0x2800, v27
	v_add_co_ci_u32_e32 v23, vcc_lo, 0, v28, vcc_lo
	global_load_dwordx4 v[16:19], v[14:15], off
	global_load_dwordx4 v[85:88], v[12:13], off offset:1952
	global_load_dwordx4 v[12:15], v[24:25], off
	v_add_co_u32 v24, vcc_lo, v24, s1
	v_add_co_ci_u32_e32 v25, vcc_lo, s0, v25, vcc_lo
	global_load_dwordx4 v[69:72], v[22:23], off offset:848
	v_add_co_u32 v37, vcc_lo, v24, s7
	v_add_co_ci_u32_e32 v38, vcc_lo, s6, v25, vcc_lo
	v_add_co_u32 v45, vcc_lo, 0x1800, v27
	v_add_co_ci_u32_e32 v46, vcc_lo, 0, v28, vcc_lo
	global_load_dwordx4 v[29:32], v[24:25], off
	global_load_dwordx4 v[117:120], v104, s[12:13] offset:2016
	global_load_dwordx4 v[33:36], v[37:38], off
	v_add_co_u32 v24, vcc_lo, v37, s1
	v_add_co_ci_u32_e32 v25, vcc_lo, s0, v38, vcc_lo
	global_load_dwordx4 v[98:101], v[45:46], off offset:912
	v_add_co_u32 v41, vcc_lo, v24, s1
	v_add_co_ci_u32_e32 v42, vcc_lo, s0, v25, vcc_lo
	v_add_co_u32 v53, vcc_lo, 0x800, v27
	v_add_co_ci_u32_e32 v54, vcc_lo, 0, v28, vcc_lo
	global_load_dwordx4 v[37:40], v[24:25], off
	global_load_dwordx4 v[105:108], v[22:23], off offset:1856
	global_load_dwordx4 v[22:25], v[41:42], off
	v_add_co_u32 v41, vcc_lo, v41, s7
	v_add_co_ci_u32_e32 v42, vcc_lo, s6, v42, vcc_lo
	global_load_dwordx4 v[90:93], v[53:54], off offset:976
	v_add_co_u32 v49, vcc_lo, v41, s1
	v_add_co_ci_u32_e32 v50, vcc_lo, s0, v42, vcc_lo
	v_add_co_u32 v55, vcc_lo, 0x3000, v27
	v_add_co_ci_u32_e32 v56, vcc_lo, 0, v28, vcc_lo
	;; [unrolled: 2-line block ×3, first 2 shown]
	global_load_dwordx4 v[41:44], v[41:42], off
	global_load_dwordx4 v[94:97], v[45:46], off offset:1920
	global_load_dwordx4 v[45:48], v[49:50], off
	global_load_dwordx4 v[109:112], v[55:56], off offset:816
	;; [unrolled: 2-line block ×3, first 2 shown]
	s_waitcnt vmcnt(23)
	v_mul_f64 v[27:28], v[2:3], v[67:68]
	v_mul_f64 v[59:60], v[0:1], v[67:68]
	s_waitcnt vmcnt(21)
	v_mul_f64 v[20:21], v[6:7], v[79:80]
	v_mul_f64 v[61:62], v[4:5], v[79:80]
	s_waitcnt vmcnt(19)
	v_mul_f64 v[63:64], v[10:11], v[75:76]
	v_fma_f64 v[0:1], v[0:1], v[65:66], v[27:28]
	buffer_store_dword v65, off, s[28:31], 0 offset:60 ; 4-byte Folded Spill
	buffer_store_dword v66, off, s[28:31], 0 offset:64 ; 4-byte Folded Spill
	;; [unrolled: 1-line block ×4, first 2 shown]
	v_mul_f64 v[27:28], v[8:9], v[75:76]
	v_fma_f64 v[4:5], v[4:5], v[77:78], v[20:21]
	buffer_store_dword v77, off, s[28:31], 0 offset:108 ; 4-byte Folded Spill
	buffer_store_dword v78, off, s[28:31], 0 offset:112 ; 4-byte Folded Spill
	buffer_store_dword v79, off, s[28:31], 0 offset:116 ; 4-byte Folded Spill
	buffer_store_dword v80, off, s[28:31], 0 offset:120 ; 4-byte Folded Spill
	v_fma_f64 v[8:9], v[8:9], v[73:74], v[63:64]
	buffer_store_dword v73, off, s[28:31], 0 offset:92 ; 4-byte Folded Spill
	buffer_store_dword v74, off, s[28:31], 0 offset:96 ; 4-byte Folded Spill
	;; [unrolled: 1-line block ×4, first 2 shown]
	s_waitcnt vmcnt(17)
	v_mul_f64 v[20:21], v[16:17], v[83:84]
	s_waitcnt vmcnt(13)
	v_mul_f64 v[63:64], v[31:32], v[71:72]
	v_fma_f64 v[2:3], v[2:3], v[65:66], -v[59:60]
	v_mul_f64 v[59:60], v[18:19], v[83:84]
	s_waitcnt vmcnt(9)
	v_mul_f64 v[65:66], v[39:40], v[100:101]
	v_fma_f64 v[6:7], v[6:7], v[77:78], -v[61:62]
	v_mul_f64 v[61:62], v[14:15], v[87:88]
	v_fma_f64 v[10:11], v[10:11], v[73:74], -v[27:28]
	v_mul_f64 v[27:28], v[12:13], v[87:88]
	v_fma_f64 v[16:17], v[16:17], v[81:82], v[59:60]
	buffer_store_dword v81, off, s[28:31], 0 offset:124 ; 4-byte Folded Spill
	buffer_store_dword v82, off, s[28:31], 0 offset:128 ; 4-byte Folded Spill
	;; [unrolled: 1-line block ×4, first 2 shown]
	v_mul_f64 v[59:60], v[35:36], v[119:120]
	v_fma_f64 v[12:13], v[12:13], v[85:86], v[61:62]
	buffer_store_dword v85, off, s[28:31], 0 offset:140 ; 4-byte Folded Spill
	buffer_store_dword v86, off, s[28:31], 0 offset:144 ; 4-byte Folded Spill
	buffer_store_dword v87, off, s[28:31], 0 offset:148 ; 4-byte Folded Spill
	buffer_store_dword v88, off, s[28:31], 0 offset:152 ; 4-byte Folded Spill
	v_mul_f64 v[61:62], v[33:34], v[119:120]
	v_fma_f64 v[18:19], v[18:19], v[81:82], -v[20:21]
	v_mul_f64 v[20:21], v[29:30], v[71:72]
	v_fma_f64 v[14:15], v[14:15], v[85:86], -v[27:28]
	v_fma_f64 v[27:28], v[29:30], v[69:70], v[63:64]
	buffer_store_dword v69, off, s[28:31], 0 offset:76 ; 4-byte Folded Spill
	buffer_store_dword v70, off, s[28:31], 0 offset:80 ; 4-byte Folded Spill
	;; [unrolled: 1-line block ×4, first 2 shown]
	s_waitcnt vmcnt(7)
	v_mul_f64 v[63:64], v[24:25], v[107:108]
	v_fma_f64 v[29:30], v[31:32], v[69:70], -v[20:21]
	v_fma_f64 v[31:32], v[33:34], v[117:118], v[59:60]
	buffer_store_dword v117, off, s[28:31], 0 offset:268 ; 4-byte Folded Spill
	buffer_store_dword v118, off, s[28:31], 0 offset:272 ; 4-byte Folded Spill
	;; [unrolled: 1-line block ×4, first 2 shown]
	v_mul_f64 v[20:21], v[37:38], v[100:101]
	global_load_dwordx4 v[67:70], v[53:54], off offset:1984
	v_mul_f64 v[59:60], v[22:23], v[107:108]
	s_waitcnt vmcnt(6)
	v_mul_f64 v[53:54], v[41:42], v[92:93]
	v_fma_f64 v[33:34], v[35:36], v[117:118], -v[61:62]
	v_fma_f64 v[35:36], v[37:38], v[98:99], v[65:66]
	buffer_store_dword v98, off, s[28:31], 0 offset:188 ; 4-byte Folded Spill
	buffer_store_dword v99, off, s[28:31], 0 offset:192 ; 4-byte Folded Spill
	buffer_store_dword v100, off, s[28:31], 0 offset:196 ; 4-byte Folded Spill
	buffer_store_dword v101, off, s[28:31], 0 offset:200 ; 4-byte Folded Spill
	v_fma_f64 v[37:38], v[39:40], v[98:99], -v[20:21]
	v_mul_f64 v[39:40], v[43:44], v[92:93]
	v_fma_f64 v[20:21], v[22:23], v[105:106], v[63:64]
	buffer_store_dword v105, off, s[28:31], 0 offset:204 ; 4-byte Folded Spill
	buffer_store_dword v106, off, s[28:31], 0 offset:208 ; 4-byte Folded Spill
	;; [unrolled: 1-line block ×4, first 2 shown]
	v_fma_f64 v[39:40], v[41:42], v[90:91], v[39:40]
	buffer_store_dword v90, off, s[28:31], 0 offset:156 ; 4-byte Folded Spill
	buffer_store_dword v91, off, s[28:31], 0 offset:160 ; 4-byte Folded Spill
	;; [unrolled: 1-line block ×4, first 2 shown]
	global_load_dwordx4 v[71:74], v[55:56], off offset:1824
	v_add_co_u32 v55, vcc_lo, v57, s7
	v_add_co_ci_u32_e32 v56, vcc_lo, s6, v58, vcc_lo
	s_mov_b32 s7, 0xbfee6f0e
	v_fma_f64 v[22:23], v[24:25], v[105:106], -v[59:60]
	s_waitcnt vmcnt(5)
	v_mul_f64 v[24:25], v[47:48], v[96:97]
	v_mul_f64 v[59:60], v[45:46], v[96:97]
	v_fma_f64 v[41:42], v[43:44], v[90:91], -v[53:54]
	s_waitcnt vmcnt(3)
	v_mul_f64 v[53:54], v[51:52], v[111:112]
	v_fma_f64 v[43:44], v[45:46], v[94:95], v[24:25]
	buffer_store_dword v94, off, s[28:31], 0 offset:172 ; 4-byte Folded Spill
	buffer_store_dword v95, off, s[28:31], 0 offset:176 ; 4-byte Folded Spill
	;; [unrolled: 1-line block ×4, first 2 shown]
	v_mul_f64 v[24:25], v[49:50], v[111:112]
	v_fma_f64 v[45:46], v[47:48], v[94:95], -v[59:60]
	v_fma_f64 v[47:48], v[49:50], v[109:110], v[53:54]
	buffer_store_dword v109, off, s[28:31], 0 offset:220 ; 4-byte Folded Spill
	buffer_store_dword v110, off, s[28:31], 0 offset:224 ; 4-byte Folded Spill
	;; [unrolled: 1-line block ×4, first 2 shown]
	v_fma_f64 v[49:50], v[51:52], v[109:110], -v[24:25]
	global_load_dwordx4 v[51:54], v[55:56], off
	s_waitcnt vmcnt(0)
	v_mul_f64 v[24:25], v[53:54], v[69:70]
	v_mul_f64 v[57:58], v[51:52], v[69:70]
	v_fma_f64 v[51:52], v[51:52], v[67:68], v[24:25]
	buffer_store_dword v67, off, s[28:31], 0 offset:252 ; 4-byte Folded Spill
	buffer_store_dword v68, off, s[28:31], 0 offset:256 ; 4-byte Folded Spill
	;; [unrolled: 1-line block ×4, first 2 shown]
	v_add_co_u32 v24, vcc_lo, v55, s1
	v_add_co_ci_u32_e32 v25, vcc_lo, s0, v56, vcc_lo
	v_fma_f64 v[53:54], v[53:54], v[67:68], -v[57:58]
	global_load_dwordx4 v[55:58], v[24:25], off
	v_add_co_u32 v24, vcc_lo, v24, s1
	v_add_co_ci_u32_e32 v25, vcc_lo, s0, v25, vcc_lo
	s_mov_b32 s0, 0xe8584caa
	s_mov_b32 s1, 0x3febb67a
	v_cmp_gt_u16_e32 vcc_lo, 9, v26
	s_waitcnt vmcnt(0)
	v_mul_f64 v[59:60], v[57:58], v[115:116]
	v_mul_f64 v[61:62], v[55:56], v[115:116]
	v_fma_f64 v[55:56], v[55:56], v[113:114], v[59:60]
	buffer_store_dword v113, off, s[28:31], 0 offset:236 ; 4-byte Folded Spill
	buffer_store_dword v114, off, s[28:31], 0 offset:240 ; 4-byte Folded Spill
	;; [unrolled: 1-line block ×4, first 2 shown]
	v_fma_f64 v[57:58], v[57:58], v[113:114], -v[61:62]
	global_load_dwordx4 v[59:62], v[24:25], off
	s_waitcnt vmcnt(0)
	v_mul_f64 v[24:25], v[61:62], v[73:74]
	v_mul_f64 v[63:64], v[59:60], v[73:74]
	v_fma_f64 v[59:60], v[59:60], v[71:72], v[24:25]
	buffer_store_dword v71, off, s[28:31], 0 offset:284 ; 4-byte Folded Spill
	buffer_store_dword v72, off, s[28:31], 0 offset:288 ; 4-byte Folded Spill
	;; [unrolled: 1-line block ×4, first 2 shown]
	ds_write_b128 v104, v[0:3]
	s_load_dwordx4 s[8:11], s[2:3], 0x0
	s_mov_b32 s3, 0xbfebb67a
	s_mov_b32 s2, s0
	v_fma_f64 v[61:62], v[61:62], v[71:72], -v[63:64]
	ds_write_b128 v104, v[4:7] offset:5040
	ds_write_b128 v104, v[8:11] offset:10080
	ds_write_b128 v104, v[16:19] offset:1008
	ds_write_b128 v104, v[12:15] offset:6048
	ds_write_b128 v104, v[27:30] offset:11088
	ds_write_b128 v104, v[31:34] offset:2016
	ds_write_b128 v104, v[35:38] offset:7056
	ds_write_b128 v104, v[20:23] offset:12096
	ds_write_b128 v104, v[39:42] offset:3024
	ds_write_b128 v104, v[43:46] offset:8064
	ds_write_b128 v104, v[47:50] offset:13104
	ds_write_b128 v104, v[51:54] offset:4032
	ds_write_b128 v104, v[55:58] offset:9072
	ds_write_b128 v104, v[59:62] offset:14112
	s_waitcnt lgkmcnt(0)
	s_waitcnt_vscnt null, 0x0
	s_barrier
	buffer_gl0_inv
	ds_read_b128 v[0:3], v104 offset:5040
	ds_read_b128 v[4:7], v104
	ds_read_b128 v[8:11], v104 offset:1008
	ds_read_b128 v[12:15], v104 offset:6048
	;; [unrolled: 1-line block ×8, first 2 shown]
	s_waitcnt lgkmcnt(8)
	v_add_f64 v[24:25], v[4:5], v[0:1]
	v_add_f64 v[43:44], v[6:7], v[2:3]
	s_waitcnt lgkmcnt(6)
	v_add_f64 v[45:46], v[8:9], v[12:13]
	v_add_f64 v[47:48], v[10:11], v[14:15]
	s_waitcnt lgkmcnt(4)
	v_add_f64 v[57:58], v[12:13], v[20:21]
	v_add_f64 v[59:60], v[14:15], -v[22:23]
	v_add_f64 v[61:62], v[14:15], v[22:23]
	v_add_f64 v[63:64], v[12:13], -v[20:21]
	;; [unrolled: 2-line block ×4, first 2 shown]
	ds_read_b128 v[0:3], v104 offset:12096
	v_add_f64 v[12:13], v[24:25], v[16:17]
	v_add_f64 v[14:15], v[43:44], v[18:19]
	s_waitcnt lgkmcnt(2)
	v_add_f64 v[24:25], v[35:36], v[27:28]
	v_add_f64 v[43:44], v[37:38], v[29:30]
	;; [unrolled: 1-line block ×4, first 2 shown]
	ds_read_b128 v[20:23], v104 offset:13104
	s_waitcnt lgkmcnt(1)
	v_add_f64 v[47:48], v[27:28], v[0:1]
	v_add_f64 v[65:66], v[29:30], -v[2:3]
	v_add_f64 v[67:68], v[29:30], v[2:3]
	v_add_f64 v[69:70], v[27:28], -v[0:1]
	v_add_f64 v[27:28], v[24:25], v[0:1]
	v_add_f64 v[29:30], v[43:44], v[2:3]
	ds_read_b128 v[0:3], v104 offset:8064
	ds_read_b128 v[43:46], v104 offset:9072
	v_fma_f64 v[47:48], v[47:48], -0.5, v[35:36]
	s_waitcnt lgkmcnt(1)
	v_add_f64 v[24:25], v[39:40], v[0:1]
	v_add_f64 v[71:72], v[41:42], v[2:3]
	;; [unrolled: 1-line block ×3, first 2 shown]
	v_add_f64 v[79:80], v[0:1], -v[20:21]
	v_add_f64 v[75:76], v[2:3], v[22:23]
	v_add_f64 v[77:78], v[2:3], -v[22:23]
	ds_read_b128 v[0:3], v104 offset:14112
	s_waitcnt lgkmcnt(0)
	s_barrier
	buffer_gl0_inv
	buffer_store_dword v89, off, s[28:31], 0 ; 4-byte Folded Spill
	v_add_f64 v[20:21], v[24:25], v[20:21]
	v_add_f64 v[24:25], v[31:32], v[43:44]
	v_add_f64 v[22:23], v[71:72], v[22:23]
	v_add_f64 v[71:72], v[33:34], v[45:46]
	v_add_f64 v[81:82], v[43:44], v[0:1]
	v_add_f64 v[87:88], v[43:44], -v[0:1]
	v_add_f64 v[83:84], v[45:46], v[2:3]
	v_add_f64 v[85:86], v[45:46], -v[2:3]
	v_add_f64 v[43:44], v[24:25], v[0:1]
	v_fma_f64 v[0:1], v[49:50], -0.5, v[4:5]
	v_fma_f64 v[24:25], v[53:54], -0.5, v[6:7]
	v_add_f64 v[45:46], v[71:72], v[2:3]
	v_fma_f64 v[49:50], v[57:58], -0.5, v[8:9]
	v_fma_f64 v[53:54], v[61:62], -0.5, v[10:11]
	;; [unrolled: 1-line block ×7, first 2 shown]
	v_and_b32_e32 v2, 0xff, v26
	v_fma_f64 v[39:40], v[65:66], s[0:1], v[47:48]
	v_fma_f64 v[47:48], v[65:66], s[2:3], v[47:48]
	;; [unrolled: 1-line block ×5, first 2 shown]
	v_mov_b32_e32 v1, 4
	v_mul_lo_u16 v0, v26, 3
	v_fma_f64 v[10:11], v[55:56], s[0:1], v[24:25]
	v_fma_f64 v[31:32], v[59:60], s[0:1], v[49:50]
	;; [unrolled: 1-line block ×4, first 2 shown]
	v_lshlrev_b32_sdwa v24, v1, v0 dst_sel:DWORD dst_unused:UNUSED_PAD src0_sel:DWORD src1_sel:WORD_0
	v_add_co_u32 v0, null, v89, 63
	v_fma_f64 v[37:38], v[63:64], s[0:1], v[53:54]
	v_fma_f64 v[41:42], v[69:70], s[2:3], v[57:58]
	;; [unrolled: 1-line block ×11, first 2 shown]
	ds_write_b128 v24, v[3:6] offset:16
	v_mul_lo_u16 v3, 0xab, v2
	ds_write_b128 v24, v[12:15]
	v_add_co_u32 v56, null, 0x7e, v89
	v_add_co_u32 v5, null, 0xbd, v89
	v_lshrrev_b16 v7, 9, v3
	v_mul_u32_u24_e32 v3, 3, v0
	v_add_co_u32 v4, null, 0xfc, v89
	ds_write_b128 v24, v[8:11] offset:32
	v_mul_lo_u16 v6, v7, 3
	v_lshlrev_b32_e32 v12, 4, v3
	v_mul_u32_u24_e32 v9, 3, v5
	v_mul_u32_u24_e32 v10, 3, v4
	buffer_store_dword v24, off, s[28:31], 0 offset:340 ; 4-byte Folded Spill
	v_sub_nc_u16 v3, v26, v6
	v_mul_u32_u24_e32 v6, 3, v56
	v_lshlrev_b32_e32 v9, 4, v9
	ds_write_b128 v12, v[16:19]
	ds_write_b128 v12, v[31:34] offset:16
	v_and_b32_e32 v8, 0xff, v3
	v_lshlrev_b32_e32 v11, 4, v6
	v_lshlrev_b32_e32 v3, 4, v10
	buffer_store_dword v12, off, s[28:31], 0 offset:364 ; 4-byte Folded Spill
	ds_write_b128 v12, v[35:38] offset:32
	ds_write_b128 v11, v[27:30]
	ds_write_b128 v11, v[39:42] offset:16
	v_lshlrev_b32_e32 v6, 5, v8
	buffer_store_dword v11, off, s[28:31], 0 offset:344 ; 4-byte Folded Spill
	ds_write_b128 v11, v[47:50] offset:32
	ds_write_b128 v9, v[20:23]
	ds_write_b128 v9, v[51:54] offset:16
	buffer_store_dword v9, off, s[28:31], 0 offset:336 ; 4-byte Folded Spill
	ds_write_b128 v9, v[57:60] offset:32
	ds_write_b128 v3, v[43:46]
	ds_write_b128 v3, v[61:64] offset:16
	buffer_store_dword v3, off, s[28:31], 0 offset:332 ; 4-byte Folded Spill
	ds_write_b128 v3, v[65:68] offset:32
	s_waitcnt lgkmcnt(0)
	s_waitcnt_vscnt null, 0x0
	s_barrier
	buffer_gl0_inv
	s_clause 0x1
	global_load_dwordx4 v[37:40], v6, s[14:15]
	global_load_dwordx4 v[45:48], v6, s[14:15] offset:16
	v_and_b32_e32 v3, 0xff, v0
	v_mul_lo_u16 v9, 0xab, v3
	v_lshrrev_b16 v25, 9, v9
	v_mul_lo_u16 v6, v25, 3
	v_sub_nc_u16 v6, v0, v6
	v_and_b32_e32 v55, 0xff, v6
	v_lshlrev_b32_e32 v6, 5, v55
	s_clause 0x1
	global_load_dwordx4 v[41:44], v6, s[14:15]
	global_load_dwordx4 v[49:52], v6, s[14:15] offset:16
	ds_read_b128 v[9:12], v104 offset:5040
	ds_read_b128 v[13:16], v104 offset:4032
	;; [unrolled: 1-line block ×4, first 2 shown]
	v_and_b32_e32 v6, 0xff, v56
	s_waitcnt vmcnt(3) lgkmcnt(3)
	v_mul_f64 v[27:28], v[11:12], v[39:40]
	v_mul_f64 v[29:30], v[9:10], v[39:40]
	s_waitcnt vmcnt(2) lgkmcnt(1)
	v_mul_f64 v[31:32], v[19:20], v[47:48]
	v_mul_f64 v[33:34], v[17:18], v[47:48]
	v_fma_f64 v[35:36], v[9:10], v[37:38], -v[27:28]
	buffer_store_dword v37, off, s[28:31], 0 offset:300 ; 4-byte Folded Spill
	buffer_store_dword v38, off, s[28:31], 0 offset:304 ; 4-byte Folded Spill
	;; [unrolled: 1-line block ×4, first 2 shown]
	v_fma_f64 v[31:32], v[17:18], v[45:46], -v[31:32]
	v_fma_f64 v[37:38], v[11:12], v[37:38], v[29:30]
	ds_read_b128 v[9:12], v104 offset:6048
	buffer_store_dword v45, off, s[28:31], 0 offset:400 ; 4-byte Folded Spill
	buffer_store_dword v46, off, s[28:31], 0 offset:404 ; 4-byte Folded Spill
	;; [unrolled: 1-line block ×4, first 2 shown]
	s_waitcnt vmcnt(1) lgkmcnt(0)
	v_mul_f64 v[27:28], v[11:12], v[43:44]
	v_fma_f64 v[39:40], v[9:10], v[41:42], -v[27:28]
	v_mul_f64 v[9:10], v[9:10], v[43:44]
	v_fma_f64 v[33:34], v[19:20], v[45:46], v[33:34]
	ds_read_b128 v[17:20], v104 offset:7056
	buffer_store_dword v41, off, s[28:31], 0 offset:384 ; 4-byte Folded Spill
	buffer_store_dword v42, off, s[28:31], 0 offset:388 ; 4-byte Folded Spill
	buffer_store_dword v43, off, s[28:31], 0 offset:392 ; 4-byte Folded Spill
	buffer_store_dword v44, off, s[28:31], 0 offset:396 ; 4-byte Folded Spill
	v_fma_f64 v[41:42], v[11:12], v[41:42], v[9:10]
	s_waitcnt vmcnt(0)
	v_mul_f64 v[9:10], v[23:24], v[51:52]
	v_fma_f64 v[43:44], v[21:22], v[49:50], -v[9:10]
	v_mul_f64 v[9:10], v[21:22], v[51:52]
	buffer_store_dword v49, off, s[28:31], 0 offset:416 ; 4-byte Folded Spill
	buffer_store_dword v50, off, s[28:31], 0 offset:420 ; 4-byte Folded Spill
	;; [unrolled: 1-line block ×4, first 2 shown]
	v_fma_f64 v[45:46], v[23:24], v[49:50], v[9:10]
	v_mul_lo_u16 v9, 0xab, v6
	v_lshrrev_b16 v59, 9, v9
	v_mul_lo_u16 v9, v59, 3
	v_sub_nc_u16 v9, v56, v9
	v_and_b32_e32 v60, 0xff, v9
	v_lshlrev_b32_e32 v9, 5, v60
	s_clause 0x1
	global_load_dwordx4 v[21:24], v9, s[14:15]
	global_load_dwordx4 v[27:30], v9, s[14:15] offset:16
	s_waitcnt vmcnt(1) lgkmcnt(0)
	v_mul_f64 v[9:10], v[19:20], v[23:24]
	v_fma_f64 v[51:52], v[17:18], v[21:22], -v[9:10]
	v_mul_f64 v[9:10], v[17:18], v[23:24]
	buffer_store_dword v21, off, s[28:31], 0 offset:460 ; 4-byte Folded Spill
	buffer_store_dword v22, off, s[28:31], 0 offset:464 ; 4-byte Folded Spill
	;; [unrolled: 1-line block ×4, first 2 shown]
	v_fma_f64 v[53:54], v[19:20], v[21:22], v[9:10]
	ds_read_b128 v[9:12], v104 offset:12096
	ds_read_b128 v[17:20], v104 offset:13104
	s_waitcnt vmcnt(0) lgkmcnt(1)
	v_mul_f64 v[21:22], v[11:12], v[29:30]
	v_fma_f64 v[57:58], v[9:10], v[27:28], -v[21:22]
	v_mul_f64 v[9:10], v[9:10], v[29:30]
	buffer_store_dword v27, off, s[28:31], 0 offset:440 ; 4-byte Folded Spill
	buffer_store_dword v28, off, s[28:31], 0 offset:444 ; 4-byte Folded Spill
	;; [unrolled: 1-line block ×4, first 2 shown]
	v_fma_f64 v[10:11], v[11:12], v[27:28], v[9:10]
	v_and_b32_e32 v9, 0xff, v5
	v_mul_lo_u16 v12, 0xab, v9
	v_mul_lo_u16 v9, v9, 57
	v_lshrrev_b16 v61, 9, v12
	v_mul_lo_u16 v12, v61, 3
	v_sub_nc_u16 v12, v5, v12
	v_and_b32_e32 v62, 0xff, v12
	v_lshlrev_b32_e32 v12, 5, v62
	s_clause 0x1
	global_load_dwordx4 v[70:73], v12, s[14:15]
	global_load_dwordx4 v[63:66], v12, s[14:15] offset:16
	ds_read_b128 v[21:24], v104 offset:8064
	ds_read_b128 v[27:30], v104 offset:9072
	v_mov_b32_e32 v12, 0xaaab
	v_mul_u32_u24_sdwa v12, v4, v12 dst_sel:DWORD dst_unused:UNUSED_PAD src0_sel:WORD_0 src1_sel:DWORD
	s_waitcnt vmcnt(1) lgkmcnt(1)
	v_mul_f64 v[47:48], v[23:24], v[72:73]
	v_fma_f64 v[68:69], v[21:22], v[70:71], -v[47:48]
	v_mul_f64 v[21:22], v[21:22], v[72:73]
	buffer_store_dword v70, off, s[28:31], 0 offset:500 ; 4-byte Folded Spill
	buffer_store_dword v71, off, s[28:31], 0 offset:504 ; 4-byte Folded Spill
	;; [unrolled: 1-line block ×4, first 2 shown]
	v_fma_f64 v[70:71], v[23:24], v[70:71], v[21:22]
	s_waitcnt vmcnt(0)
	v_mul_f64 v[21:22], v[19:20], v[65:66]
	v_fma_f64 v[72:73], v[17:18], v[63:64], -v[21:22]
	v_mul_f64 v[17:18], v[17:18], v[65:66]
	buffer_store_dword v63, off, s[28:31], 0 offset:480 ; 4-byte Folded Spill
	buffer_store_dword v64, off, s[28:31], 0 offset:484 ; 4-byte Folded Spill
	;; [unrolled: 1-line block ×4, first 2 shown]
	v_add_f64 v[66:67], v[53:54], v[10:11]
	v_fma_f64 v[74:75], v[19:20], v[63:64], v[17:18]
	v_lshrrev_b32_e32 v63, 17, v12
	v_add_f64 v[64:65], v[51:52], v[57:58]
	v_mul_lo_u16 v12, v63, 3
	v_sub_nc_u16 v76, v4, v12
	v_lshlrev_b16 v12, 1, v76
	v_lshlrev_b32_sdwa v12, v1, v12 dst_sel:DWORD dst_unused:UNUSED_PAD src0_sel:DWORD src1_sel:WORD_0
	s_clause 0x1
	global_load_dwordx4 v[19:22], v12, s[14:15]
	global_load_dwordx4 v[47:50], v12, s[14:15] offset:16
	s_waitcnt vmcnt(1) lgkmcnt(0)
	v_mul_f64 v[17:18], v[29:30], v[21:22]
	v_fma_f64 v[105:106], v[27:28], v[19:20], -v[17:18]
	v_mul_f64 v[17:18], v[27:28], v[21:22]
	buffer_store_dword v19, off, s[28:31], 0 offset:544 ; 4-byte Folded Spill
	buffer_store_dword v20, off, s[28:31], 0 offset:548 ; 4-byte Folded Spill
	;; [unrolled: 1-line block ×4, first 2 shown]
	v_add_f64 v[27:28], v[35:36], v[31:32]
	v_fma_f64 v[112:113], v[29:30], v[19:20], v[17:18]
	ds_read_b128 v[17:20], v104 offset:14112
	s_waitcnt vmcnt(0) lgkmcnt(0)
	v_mul_f64 v[21:22], v[19:20], v[49:50]
	v_fma_f64 v[114:115], v[17:18], v[47:48], -v[21:22]
	v_mul_f64 v[17:18], v[17:18], v[49:50]
	buffer_store_dword v47, off, s[28:31], 0 offset:528 ; 4-byte Folded Spill
	buffer_store_dword v48, off, s[28:31], 0 offset:532 ; 4-byte Folded Spill
	;; [unrolled: 1-line block ×4, first 2 shown]
	v_fma_f64 v[116:117], v[19:20], v[47:48], v[17:18]
	ds_read_b128 v[17:20], v104
	ds_read_b128 v[21:24], v104 offset:1008
	s_waitcnt lgkmcnt(1)
	v_fma_f64 v[29:30], v[27:28], -0.5, v[17:18]
	v_add_f64 v[27:28], v[37:38], v[33:34]
	v_add_f64 v[17:18], v[17:18], v[35:36]
	v_add_f64 v[120:121], v[112:113], -v[116:117]
	v_fma_f64 v[47:48], v[27:28], -0.5, v[19:20]
	v_add_f64 v[19:20], v[19:20], v[37:38]
	v_add_f64 v[37:38], v[37:38], -v[33:34]
	v_add_f64 v[17:18], v[17:18], v[31:32]
	v_add_f64 v[19:20], v[19:20], v[33:34]
	v_add_f64 v[33:34], v[35:36], -v[31:32]
	v_add_f64 v[35:36], v[39:40], v[43:44]
	v_fma_f64 v[27:28], v[37:38], s[0:1], v[29:30]
	v_fma_f64 v[31:32], v[37:38], s[2:3], v[29:30]
	;; [unrolled: 1-line block ×3, first 2 shown]
	s_waitcnt lgkmcnt(0)
	v_fma_f64 v[37:38], v[35:36], -0.5, v[21:22]
	v_add_f64 v[35:36], v[41:42], v[45:46]
	v_add_f64 v[21:22], v[21:22], v[39:40]
	v_fma_f64 v[33:34], v[33:34], s[0:1], v[47:48]
	v_fma_f64 v[47:48], v[35:36], -0.5, v[23:24]
	v_add_f64 v[23:24], v[23:24], v[41:42]
	v_add_f64 v[41:42], v[41:42], -v[45:46]
	v_add_f64 v[21:22], v[21:22], v[43:44]
	v_add_f64 v[43:44], v[39:40], -v[43:44]
	v_add_f64 v[23:24], v[23:24], v[45:46]
	v_fma_f64 v[35:36], v[41:42], s[0:1], v[37:38]
	v_fma_f64 v[39:40], v[41:42], s[2:3], v[37:38]
	;; [unrolled: 1-line block ×4, first 2 shown]
	ds_read_b128 v[43:46], v104 offset:2016
	ds_read_b128 v[47:50], v104 offset:3024
	s_waitcnt lgkmcnt(0)
	s_waitcnt_vscnt null, 0x0
	s_barrier
	buffer_gl0_inv
	v_fma_f64 v[66:67], v[66:67], -0.5, v[45:46]
	v_add_f64 v[45:46], v[45:46], v[53:54]
	v_fma_f64 v[64:65], v[64:65], -0.5, v[43:44]
	v_add_f64 v[43:44], v[43:44], v[51:52]
	v_add_f64 v[53:54], v[53:54], -v[10:11]
	v_add_f64 v[45:46], v[45:46], v[10:11]
	v_add_f64 v[10:11], v[51:52], -v[57:58]
	v_add_f64 v[43:44], v[43:44], v[57:58]
	v_fma_f64 v[51:52], v[53:54], s[0:1], v[64:65]
	v_fma_f64 v[64:65], v[53:54], s[2:3], v[64:65]
	v_add_f64 v[57:58], v[70:71], v[74:75]
	v_fma_f64 v[53:54], v[10:11], s[2:3], v[66:67]
	v_fma_f64 v[66:67], v[10:11], s[0:1], v[66:67]
	v_add_f64 v[10:11], v[68:69], v[72:73]
	v_fma_f64 v[57:58], v[57:58], -0.5, v[49:50]
	v_add_f64 v[49:50], v[49:50], v[70:71]
	v_add_f64 v[70:71], v[70:71], -v[74:75]
	v_fma_f64 v[10:11], v[10:11], -0.5, v[47:48]
	v_add_f64 v[47:48], v[47:48], v[68:69]
	v_add_f64 v[49:50], v[49:50], v[74:75]
	v_add_f64 v[74:75], v[68:69], -v[72:73]
	v_fma_f64 v[68:69], v[70:71], s[0:1], v[10:11]
	v_add_f64 v[47:48], v[47:48], v[72:73]
	v_fma_f64 v[72:73], v[70:71], s[2:3], v[10:11]
	v_add_f64 v[10:11], v[105:106], v[114:115]
	v_fma_f64 v[70:71], v[74:75], s[2:3], v[57:58]
	v_fma_f64 v[74:75], v[74:75], s[0:1], v[57:58]
	v_fma_f64 v[57:58], v[10:11], -0.5, v[13:14]
	v_add_f64 v[10:11], v[112:113], v[116:117]
	v_fma_f64 v[118:119], v[10:11], -0.5, v[15:16]
	v_add_f64 v[10:11], v[15:16], v[112:113]
	v_add_f64 v[14:15], v[13:14], v[105:106]
	v_fma_f64 v[112:113], v[120:121], s[0:1], v[57:58]
	v_add_f64 v[12:13], v[10:11], v[116:117]
	v_add_f64 v[10:11], v[14:15], v[114:115]
	v_add_f64 v[14:15], v[105:106], -v[114:115]
	v_fma_f64 v[116:117], v[120:121], s[2:3], v[57:58]
	v_fma_f64 v[114:115], v[14:15], s[2:3], v[118:119]
	;; [unrolled: 1-line block ×3, first 2 shown]
	v_mov_b32_e32 v14, 9
	v_mul_u32_u24_sdwa v7, v7, v14 dst_sel:DWORD dst_unused:UNUSED_PAD src0_sel:WORD_0 src1_sel:DWORD
	v_add_lshl_u32 v7, v7, v8, 4
	ds_write_b128 v7, v[17:20]
	ds_write_b128 v7, v[27:30] offset:48
	buffer_store_dword v7, off, s[28:31], 0 offset:580 ; 4-byte Folded Spill
	ds_write_b128 v7, v[31:34] offset:96
	v_mul_u32_u24_sdwa v7, v25, v14 dst_sel:DWORD dst_unused:UNUSED_PAD src0_sel:WORD_0 src1_sel:DWORD
	v_add_lshl_u32 v7, v7, v55, 4
	ds_write_b128 v7, v[21:24]
	ds_write_b128 v7, v[35:38] offset:48
	buffer_store_dword v7, off, s[28:31], 0 offset:560 ; 4-byte Folded Spill
	ds_write_b128 v7, v[39:42] offset:96
	;; [unrolled: 6-line block ×4, first 2 shown]
	v_mad_u16 v7, v63, 9, v76
	v_lshrrev_b16 v62, 9, v9
	v_lshlrev_b32_sdwa v7, v1, v7 dst_sel:DWORD dst_unused:UNUSED_PAD src0_sel:DWORD src1_sel:WORD_0
	ds_write_b128 v7, v[10:13]
	ds_write_b128 v7, v[112:115] offset:48
	buffer_store_dword v7, off, s[28:31], 0 offset:432 ; 4-byte Folded Spill
	ds_write_b128 v7, v[116:119] offset:96
	v_mul_lo_u16 v7, v2, 57
	s_waitcnt lgkmcnt(0)
	s_waitcnt_vscnt null, 0x0
	s_barrier
	buffer_gl0_inv
	v_mul_lo_u16 v9, v62, 9
	v_lshrrev_b16 v7, 9, v7
	v_sub_nc_u16 v5, v5, v9
	v_mul_lo_u16 v8, v7, 9
	v_and_b32_e32 v63, 0xff, v5
	v_sub_nc_u16 v8, v26, v8
	v_lshlrev_b32_e32 v5, 5, v63
	v_and_b32_e32 v8, 0xff, v8
	v_lshlrev_b32_e32 v10, 5, v8
	s_clause 0x1
	global_load_dwordx4 v[20:23], v10, s[14:15] offset:96
	global_load_dwordx4 v[33:36], v10, s[14:15] offset:112
	ds_read_b128 v[10:13], v104 offset:5040
	ds_read_b128 v[14:17], v104 offset:4032
	s_waitcnt vmcnt(1) lgkmcnt(1)
	v_mul_f64 v[18:19], v[12:13], v[22:23]
	v_fma_f64 v[27:28], v[10:11], v[20:21], -v[18:19]
	v_mul_f64 v[10:11], v[10:11], v[22:23]
	buffer_store_dword v20, off, s[28:31], 0 offset:316 ; 4-byte Folded Spill
	buffer_store_dword v21, off, s[28:31], 0 offset:320 ; 4-byte Folded Spill
	;; [unrolled: 1-line block ×4, first 2 shown]
	v_fma_f64 v[29:30], v[12:13], v[20:21], v[10:11]
	ds_read_b128 v[10:13], v104 offset:10080
	ds_read_b128 v[18:21], v104 offset:11088
	s_waitcnt vmcnt(0) lgkmcnt(1)
	v_mul_f64 v[22:23], v[12:13], v[35:36]
	v_fma_f64 v[31:32], v[10:11], v[33:34], -v[22:23]
	v_mul_f64 v[10:11], v[10:11], v[35:36]
	buffer_store_dword v33, off, s[28:31], 0 offset:564 ; 4-byte Folded Spill
	buffer_store_dword v34, off, s[28:31], 0 offset:568 ; 4-byte Folded Spill
	;; [unrolled: 1-line block ×4, first 2 shown]
	v_fma_f64 v[33:34], v[12:13], v[33:34], v[10:11]
	v_mul_lo_u16 v10, v3, 57
	v_mul_lo_u16 v3, v3, 19
	v_lshrrev_b16 v55, 9, v10
	v_mul_lo_u16 v10, v55, 9
	v_sub_nc_u16 v10, v0, v10
	v_and_b32_e32 v59, 0xff, v10
	v_lshlrev_b32_e32 v10, 5, v59
	s_clause 0x1
	global_load_dwordx4 v[188:191], v10, s[14:15] offset:96
	global_load_dwordx4 v[184:187], v10, s[14:15] offset:112
	ds_read_b128 v[10:13], v104 offset:6048
	ds_read_b128 v[22:25], v104 offset:7056
	s_waitcnt vmcnt(1) lgkmcnt(1)
	v_mul_f64 v[35:36], v[12:13], v[190:191]
	v_fma_f64 v[35:36], v[10:11], v[188:189], -v[35:36]
	v_mul_f64 v[10:11], v[10:11], v[190:191]
	v_fma_f64 v[37:38], v[12:13], v[188:189], v[10:11]
	s_waitcnt vmcnt(0)
	v_mul_f64 v[10:11], v[20:21], v[186:187]
	v_fma_f64 v[39:40], v[18:19], v[184:185], -v[10:11]
	v_mul_f64 v[10:11], v[18:19], v[186:187]
	v_fma_f64 v[41:42], v[20:21], v[184:185], v[10:11]
	v_mul_lo_u16 v10, v6, 57
	v_lshrrev_b16 v60, 9, v10
	v_mul_lo_u16 v10, v60, 9
	v_sub_nc_u16 v10, v56, v10
	v_and_b32_e32 v61, 0xff, v10
	v_lshlrev_b32_e32 v10, 5, v61
	s_clause 0x1
	global_load_dwordx4 v[196:199], v10, s[14:15] offset:96
	global_load_dwordx4 v[192:195], v10, s[14:15] offset:112
	s_waitcnt vmcnt(1) lgkmcnt(0)
	v_mul_f64 v[10:11], v[24:25], v[198:199]
	v_fma_f64 v[47:48], v[22:23], v[196:197], -v[10:11]
	v_mul_f64 v[10:11], v[22:23], v[198:199]
	v_fma_f64 v[49:50], v[24:25], v[196:197], v[10:11]
	ds_read_b128 v[10:13], v104 offset:12096
	ds_read_b128 v[18:21], v104 offset:13104
	s_clause 0x1
	global_load_dwordx4 v[204:207], v5, s[14:15] offset:96
	global_load_dwordx4 v[200:203], v5, s[14:15] offset:112
	v_mov_b32_e32 v5, 0xe38f
	v_mul_u32_u24_sdwa v5, v4, v5 dst_sel:DWORD dst_unused:UNUSED_PAD src0_sel:WORD_0 src1_sel:DWORD
	v_lshrrev_b32_e32 v76, 19, v5
	v_mul_lo_u16 v5, v76, 9
	s_waitcnt vmcnt(2) lgkmcnt(1)
	v_mul_f64 v[22:23], v[12:13], v[194:195]
	v_sub_nc_u16 v77, v4, v5
	v_lshlrev_b16 v4, 5, v77
	v_and_b32_e32 v4, 0xffff, v4
	v_add_co_u32 v4, s6, s14, v4
	v_add_co_ci_u32_e64 v5, null, s15, 0, s6
	v_fma_f64 v[51:52], v[10:11], v[192:193], -v[22:23]
	v_mul_f64 v[10:11], v[10:11], v[194:195]
	s_mov_b32 s6, s16
	v_add_f64 v[70:71], v[47:48], v[51:52]
	v_fma_f64 v[53:54], v[12:13], v[192:193], v[10:11]
	ds_read_b128 v[9:12], v104 offset:8064
	ds_read_b128 v[22:25], v104 offset:9072
	s_clause 0x1
	global_load_dwordx4 v[212:215], v[4:5], off offset:96
	global_load_dwordx4 v[208:211], v[4:5], off offset:112
	v_add_f64 v[72:73], v[49:50], v[53:54]
	s_waitcnt vmcnt(3) lgkmcnt(1)
	v_mul_f64 v[43:44], v[11:12], v[206:207]
	v_fma_f64 v[57:58], v[9:10], v[204:205], -v[43:44]
	v_mul_f64 v[9:10], v[9:10], v[206:207]
	v_fma_f64 v[64:65], v[11:12], v[204:205], v[9:10]
	s_waitcnt vmcnt(2)
	v_mul_f64 v[9:10], v[20:21], v[202:203]
	s_waitcnt vmcnt(1) lgkmcnt(0)
	v_mul_f64 v[4:5], v[24:25], v[214:215]
	v_fma_f64 v[66:67], v[18:19], v[200:201], -v[9:10]
	v_mul_f64 v[9:10], v[18:19], v[202:203]
	v_fma_f64 v[4:5], v[22:23], v[212:213], -v[4:5]
	v_fma_f64 v[68:69], v[20:21], v[200:201], v[9:10]
	v_mul_f64 v[9:10], v[22:23], v[214:215]
	v_add_f64 v[22:23], v[27:28], v[31:32]
	v_fma_f64 v[105:106], v[24:25], v[212:213], v[9:10]
	ds_read_b128 v[9:12], v104 offset:14112
	s_waitcnt vmcnt(0) lgkmcnt(0)
	v_mul_f64 v[18:19], v[11:12], v[210:211]
	v_fma_f64 v[116:117], v[9:10], v[208:209], -v[18:19]
	v_mul_f64 v[9:10], v[9:10], v[210:211]
	v_fma_f64 v[118:119], v[11:12], v[208:209], v[9:10]
	ds_read_b128 v[9:12], v104
	ds_read_b128 v[18:21], v104 offset:1008
	s_waitcnt lgkmcnt(1)
	v_fma_f64 v[24:25], v[22:23], -0.5, v[9:10]
	v_add_f64 v[22:23], v[29:30], v[33:34]
	v_add_f64 v[9:10], v[9:10], v[27:28]
	v_fma_f64 v[43:44], v[22:23], -0.5, v[11:12]
	v_add_f64 v[11:12], v[11:12], v[29:30]
	v_add_f64 v[29:30], v[29:30], -v[33:34]
	v_add_f64 v[9:10], v[9:10], v[31:32]
	v_add_f64 v[31:32], v[27:28], -v[31:32]
	v_add_f64 v[11:12], v[11:12], v[33:34]
	v_fma_f64 v[22:23], v[29:30], s[0:1], v[24:25]
	v_fma_f64 v[27:28], v[29:30], s[2:3], v[24:25]
	v_fma_f64 v[24:25], v[31:32], s[2:3], v[43:44]
	v_fma_f64 v[29:30], v[31:32], s[0:1], v[43:44]
	v_add_f64 v[31:32], v[35:36], v[39:40]
	s_waitcnt lgkmcnt(0)
	v_fma_f64 v[33:34], v[31:32], -0.5, v[18:19]
	v_add_f64 v[31:32], v[37:38], v[41:42]
	v_add_f64 v[18:19], v[18:19], v[35:36]
	v_fma_f64 v[43:44], v[31:32], -0.5, v[20:21]
	v_add_f64 v[20:21], v[20:21], v[37:38]
	v_add_f64 v[37:38], v[37:38], -v[41:42]
	v_add_f64 v[18:19], v[18:19], v[39:40]
	v_add_f64 v[39:40], v[35:36], -v[39:40]
	v_add_f64 v[20:21], v[20:21], v[41:42]
	v_fma_f64 v[31:32], v[37:38], s[0:1], v[33:34]
	v_fma_f64 v[35:36], v[37:38], s[2:3], v[33:34]
	;; [unrolled: 1-line block ×4, first 2 shown]
	ds_read_b128 v[39:42], v104 offset:2016
	ds_read_b128 v[43:46], v104 offset:3024
	s_waitcnt lgkmcnt(0)
	s_waitcnt_vscnt null, 0x0
	s_barrier
	buffer_gl0_inv
	v_fma_f64 v[72:73], v[72:73], -0.5, v[41:42]
	v_add_f64 v[41:42], v[41:42], v[49:50]
	v_fma_f64 v[70:71], v[70:71], -0.5, v[39:40]
	v_add_f64 v[39:40], v[39:40], v[47:48]
	v_add_f64 v[49:50], v[49:50], -v[53:54]
	v_add_f64 v[41:42], v[41:42], v[53:54]
	v_add_f64 v[53:54], v[47:48], -v[51:52]
	v_add_f64 v[39:40], v[39:40], v[51:52]
	v_fma_f64 v[47:48], v[49:50], s[0:1], v[70:71]
	v_fma_f64 v[51:52], v[49:50], s[2:3], v[70:71]
	v_add_f64 v[70:71], v[57:58], v[66:67]
	v_fma_f64 v[49:50], v[53:54], s[2:3], v[72:73]
	v_fma_f64 v[53:54], v[53:54], s[0:1], v[72:73]
	v_add_f64 v[72:73], v[64:65], v[68:69]
	v_fma_f64 v[70:71], v[70:71], -0.5, v[43:44]
	v_add_f64 v[43:44], v[43:44], v[57:58]
	v_add_f64 v[57:58], v[57:58], -v[66:67]
	v_fma_f64 v[74:75], v[72:73], -0.5, v[45:46]
	v_add_f64 v[45:46], v[45:46], v[64:65]
	v_add_f64 v[64:65], v[64:65], -v[68:69]
	v_add_f64 v[43:44], v[43:44], v[66:67]
	v_add_f64 v[66:67], v[105:106], -v[118:119]
	v_add_f64 v[45:46], v[45:46], v[68:69]
	v_fma_f64 v[68:69], v[64:65], s[0:1], v[70:71]
	v_fma_f64 v[72:73], v[64:65], s[2:3], v[70:71]
	;; [unrolled: 1-line block ×4, first 2 shown]
	v_add_f64 v[57:58], v[4:5], v[116:117]
	v_add_f64 v[64:65], v[105:106], v[118:119]
	v_fma_f64 v[57:58], v[57:58], -0.5, v[14:15]
	v_fma_f64 v[64:65], v[64:65], -0.5, v[16:17]
	v_add_f64 v[16:17], v[16:17], v[105:106]
	v_add_f64 v[13:14], v[14:15], v[4:5]
	v_add_f64 v[4:5], v[4:5], -v[116:117]
	v_fma_f64 v[120:121], v[66:67], s[2:3], v[57:58]
	v_add_f64 v[15:16], v[16:17], v[118:119]
	v_add_f64 v[13:14], v[13:14], v[116:117]
	v_fma_f64 v[118:119], v[4:5], s[2:3], v[64:65]
	v_fma_f64 v[122:123], v[4:5], s[0:1], v[64:65]
	v_mul_lo_u16 v4, v7, 27
	v_fma_f64 v[116:117], v[66:67], s[0:1], v[57:58]
	s_mov_b32 s0, 0x4755a5e
	s_mov_b32 s1, 0x3fe2cf23
	;; [unrolled: 1-line block ×3, first 2 shown]
	v_and_b32_e32 v4, 0xff, v4
	s_mov_b32 s2, s0
	v_add_lshl_u32 v4, v4, v8, 4
	ds_write_b128 v4, v[9:12]
	ds_write_b128 v4, v[22:25] offset:144
	buffer_store_dword v4, off, s[28:31], 0 offset:456 ; 4-byte Folded Spill
	ds_write_b128 v4, v[27:30] offset:288
	v_mov_b32_e32 v4, 27
	v_lshrrev_b16 v25, 9, v3
	v_mul_u32_u24_sdwa v5, v55, v4 dst_sel:DWORD dst_unused:UNUSED_PAD src0_sel:WORD_0 src1_sel:DWORD
	v_mul_lo_u16 v3, v25, 27
	v_add_lshl_u32 v5, v5, v59, 4
	ds_write_b128 v5, v[18:21]
	ds_write_b128 v5, v[31:34] offset:144
	buffer_store_dword v5, off, s[28:31], 0 offset:496 ; 4-byte Folded Spill
	ds_write_b128 v5, v[35:38] offset:288
	v_mul_u32_u24_sdwa v5, v60, v4 dst_sel:DWORD dst_unused:UNUSED_PAD src0_sel:WORD_0 src1_sel:DWORD
	v_mul_u32_u24_sdwa v4, v62, v4 dst_sel:DWORD dst_unused:UNUSED_PAD src0_sel:WORD_0 src1_sel:DWORD
	v_sub_nc_u16 v0, v0, v3
	v_add_lshl_u32 v5, v5, v61, 4
	v_add_lshl_u32 v4, v4, v63, 4
	ds_write_b128 v5, v[39:42]
	ds_write_b128 v5, v[47:50] offset:144
	buffer_store_dword v5, off, s[28:31], 0 offset:516 ; 4-byte Folded Spill
	ds_write_b128 v5, v[51:54] offset:288
	ds_write_b128 v4, v[43:46]
	ds_write_b128 v4, v[68:71] offset:144
	buffer_store_dword v4, off, s[28:31], 0 offset:520 ; 4-byte Folded Spill
	ds_write_b128 v4, v[72:75] offset:288
	v_mad_u16 v4, v76, 27, v77
	v_and_b32_e32 v0, 0xff, v0
	v_lshlrev_b32_sdwa v1, v1, v4 dst_sel:DWORD dst_unused:UNUSED_PAD src0_sel:DWORD src1_sel:WORD_0
	ds_write_b128 v1, v[13:16]
	ds_write_b128 v1, v[116:119] offset:144
	buffer_store_dword v1, off, s[28:31], 0 offset:524 ; 4-byte Folded Spill
	ds_write_b128 v1, v[120:123] offset:288
	v_mul_lo_u16 v1, v2, 19
	s_waitcnt lgkmcnt(0)
	s_waitcnt_vscnt null, 0x0
	s_barrier
	buffer_gl0_inv
	v_lshrrev_b16 v1, 9, v1
	v_mul_lo_u16 v2, v1, 27
	v_sub_nc_u16 v2, v26, v2
	v_and_b32_e32 v2, 0xff, v2
	v_lshlrev_b32_e32 v4, 6, v2
	s_clause 0x1
	global_load_dwordx4 v[17:20], v4, s[14:15] offset:384
	global_load_dwordx4 v[27:30], v4, s[14:15] offset:400
	ds_read_b128 v[7:10], v104 offset:3024
	ds_read_b128 v[11:14], v104 offset:2016
	s_waitcnt vmcnt(1) lgkmcnt(1)
	v_mul_f64 v[15:16], v[9:10], v[19:20]
	v_fma_f64 v[23:24], v[7:8], v[17:18], -v[15:16]
	v_mul_f64 v[7:8], v[7:8], v[19:20]
	buffer_store_dword v17, off, s[28:31], 0 offset:348 ; 4-byte Folded Spill
	buffer_store_dword v18, off, s[28:31], 0 offset:352 ; 4-byte Folded Spill
	;; [unrolled: 1-line block ×4, first 2 shown]
	v_fma_f64 v[35:36], v[9:10], v[17:18], v[7:8]
	ds_read_b128 v[7:10], v104 offset:6048
	ds_read_b128 v[15:18], v104 offset:7056
	s_waitcnt vmcnt(0) lgkmcnt(1)
	v_mul_f64 v[19:20], v[9:10], v[29:30]
	v_fma_f64 v[37:38], v[7:8], v[27:28], -v[19:20]
	v_mul_f64 v[7:8], v[7:8], v[29:30]
	buffer_store_dword v27, off, s[28:31], 0 offset:368 ; 4-byte Folded Spill
	buffer_store_dword v28, off, s[28:31], 0 offset:372 ; 4-byte Folded Spill
	;; [unrolled: 1-line block ×4, first 2 shown]
	s_clause 0x1
	global_load_dwordx4 v[148:151], v4, s[14:15] offset:416
	global_load_dwordx4 v[144:147], v4, s[14:15] offset:432
	v_fma_f64 v[39:40], v[9:10], v[27:28], v[7:8]
	ds_read_b128 v[7:10], v104 offset:9072
	ds_read_b128 v[19:22], v104 offset:8064
	s_waitcnt vmcnt(1) lgkmcnt(1)
	v_mul_f64 v[4:5], v[9:10], v[150:151]
	v_fma_f64 v[41:42], v[7:8], v[148:149], -v[4:5]
	v_mul_f64 v[4:5], v[7:8], v[150:151]
	v_add_f64 v[158:159], v[37:38], -v[41:42]
	v_fma_f64 v[43:44], v[9:10], v[148:149], v[4:5]
	ds_read_b128 v[7:10], v104 offset:12096
	ds_read_b128 v[27:30], v104 offset:13104
	s_waitcnt vmcnt(0) lgkmcnt(1)
	v_mul_f64 v[4:5], v[9:10], v[146:147]
	v_fma_f64 v[45:46], v[7:8], v[144:145], -v[4:5]
	v_mul_f64 v[4:5], v[7:8], v[146:147]
	v_add_f64 v[156:157], v[23:24], -v[45:46]
	v_fma_f64 v[47:48], v[9:10], v[144:145], v[4:5]
	v_lshlrev_b32_e32 v5, 6, v0
	s_clause 0x1
	global_load_dwordx4 v[152:155], v5, s[14:15] offset:384
	global_load_dwordx4 v[57:60], v5, s[14:15] offset:400
	ds_read_b128 v[7:10], v104 offset:4032
	ds_read_b128 v[31:34], v104 offset:5040
	s_waitcnt vmcnt(1) lgkmcnt(1)
	v_mul_f64 v[3:4], v[9:10], v[154:155]
	v_fma_f64 v[49:50], v[7:8], v[152:153], -v[3:4]
	v_mul_f64 v[3:4], v[7:8], v[154:155]
	v_fma_f64 v[51:52], v[9:10], v[152:153], v[3:4]
	s_waitcnt vmcnt(0)
	v_mul_f64 v[3:4], v[17:18], v[59:60]
	v_fma_f64 v[53:54], v[15:16], v[57:58], -v[3:4]
	v_mul_f64 v[3:4], v[15:16], v[59:60]
	buffer_store_dword v57, off, s[28:31], 0 offset:584 ; 4-byte Folded Spill
	buffer_store_dword v58, off, s[28:31], 0 offset:588 ; 4-byte Folded Spill
	;; [unrolled: 1-line block ×4, first 2 shown]
	s_clause 0x1
	global_load_dwordx4 v[66:69], v5, s[14:15] offset:416
	global_load_dwordx4 v[59:62], v5, s[14:15] offset:432
	v_fma_f64 v[57:58], v[17:18], v[57:58], v[3:4]
	ds_read_b128 v[7:10], v104 offset:10080
	ds_read_b128 v[15:18], v104 offset:11088
	s_waitcnt vmcnt(1) lgkmcnt(1)
	v_mul_f64 v[3:4], v[9:10], v[68:69]
	v_fma_f64 v[64:65], v[7:8], v[66:67], -v[3:4]
	v_mul_f64 v[3:4], v[7:8], v[68:69]
	buffer_store_dword v66, off, s[28:31], 0 offset:620 ; 4-byte Folded Spill
	buffer_store_dword v67, off, s[28:31], 0 offset:624 ; 4-byte Folded Spill
	;; [unrolled: 1-line block ×4, first 2 shown]
	v_fma_f64 v[66:67], v[9:10], v[66:67], v[3:4]
	s_waitcnt vmcnt(0)
	v_mul_f64 v[3:4], v[29:30], v[61:62]
	v_fma_f64 v[68:69], v[27:28], v[59:60], -v[3:4]
	v_mul_f64 v[3:4], v[27:28], v[61:62]
	buffer_store_dword v59, off, s[28:31], 0 offset:604 ; 4-byte Folded Spill
	buffer_store_dword v60, off, s[28:31], 0 offset:608 ; 4-byte Folded Spill
	buffer_store_dword v61, off, s[28:31], 0 offset:612 ; 4-byte Folded Spill
	buffer_store_dword v62, off, s[28:31], 0 offset:616 ; 4-byte Folded Spill
	v_fma_f64 v[70:71], v[29:30], v[59:60], v[3:4]
	v_mul_lo_u16 v3, v6, 19
	v_lshrrev_b16 v55, 9, v3
	v_mul_lo_u16 v3, v55, 27
	v_sub_nc_u16 v3, v56, v3
	v_and_b32_e32 v59, 0xff, v3
	v_lshlrev_b32_e32 v5, 6, v59
	s_clause 0x3
	global_load_dwordx4 v[132:135], v5, s[14:15] offset:384
	global_load_dwordx4 v[128:131], v5, s[14:15] offset:400
	;; [unrolled: 1-line block ×4, first 2 shown]
	s_waitcnt vmcnt(3)
	v_mul_f64 v[3:4], v[33:34], v[134:135]
	v_fma_f64 v[72:73], v[31:32], v[132:133], -v[3:4]
	v_mul_f64 v[3:4], v[31:32], v[134:135]
	v_add_f64 v[31:32], v[35:36], -v[47:48]
	v_fma_f64 v[74:75], v[33:34], v[132:133], v[3:4]
	s_waitcnt vmcnt(2)
	v_mul_f64 v[3:4], v[21:22], v[130:131]
	v_add_f64 v[33:34], v[39:40], -v[43:44]
	v_fma_f64 v[105:106], v[19:20], v[128:129], -v[3:4]
	v_mul_f64 v[3:4], v[19:20], v[130:131]
	v_fma_f64 v[164:165], v[21:22], v[128:129], v[3:4]
	s_waitcnt vmcnt(1) lgkmcnt(0)
	v_mul_f64 v[3:4], v[17:18], v[142:143]
	v_fma_f64 v[166:167], v[15:16], v[140:141], -v[3:4]
	v_mul_f64 v[3:4], v[15:16], v[142:143]
	v_add_f64 v[15:16], v[37:38], v[41:42]
	v_fma_f64 v[168:169], v[17:18], v[140:141], v[3:4]
	ds_read_b128 v[3:6], v104 offset:14112
	s_waitcnt vmcnt(0) lgkmcnt(0)
	v_mul_f64 v[7:8], v[5:6], v[138:139]
	v_fma_f64 v[170:171], v[3:4], v[136:137], -v[7:8]
	v_mul_f64 v[3:4], v[3:4], v[138:139]
	v_fma_f64 v[172:173], v[5:6], v[136:137], v[3:4]
	v_add_f64 v[3:4], v[23:24], -v[37:38]
	v_add_f64 v[5:6], v[45:46], -v[41:42]
	v_add_f64 v[19:20], v[3:4], v[5:6]
	v_add_f64 v[3:4], v[35:36], -v[39:40]
	v_add_f64 v[5:6], v[47:48], -v[43:44]
	v_add_f64 v[21:22], v[3:4], v[5:6]
	ds_read_b128 v[3:6], v104
	ds_read_b128 v[7:10], v104 offset:1008
	s_waitcnt lgkmcnt(0)
	s_waitcnt_vscnt null, 0x0
	s_barrier
	buffer_gl0_inv
	v_fma_f64 v[27:28], v[15:16], -0.5, v[3:4]
	v_add_f64 v[15:16], v[39:40], v[43:44]
	v_fma_f64 v[29:30], v[15:16], -0.5, v[5:6]
	v_fma_f64 v[15:16], v[31:32], s[16:17], v[27:28]
	v_fma_f64 v[27:28], v[31:32], s[6:7], v[27:28]
	;; [unrolled: 1-line block ×9, first 2 shown]
	v_add_f64 v[27:28], v[23:24], v[45:46]
	v_fma_f64 v[29:30], v[158:159], s[0:1], v[29:30]
	v_fma_f64 v[17:18], v[21:22], s[18:19], v[17:18]
	v_fma_f64 v[160:161], v[27:28], -0.5, v[3:4]
	v_add_f64 v[27:28], v[35:36], v[47:48]
	v_add_f64 v[3:4], v[3:4], v[23:24]
	v_fma_f64 v[21:22], v[21:22], s[18:19], v[29:30]
	v_add_f64 v[23:24], v[37:38], -v[23:24]
	v_fma_f64 v[162:163], v[27:28], -0.5, v[5:6]
	v_add_f64 v[5:6], v[5:6], v[35:36]
	v_add_f64 v[3:4], v[3:4], v[37:38]
	v_add_f64 v[35:36], v[39:40], -v[35:36]
	v_add_f64 v[37:38], v[41:42], -v[45:46]
	v_add_f64 v[5:6], v[5:6], v[39:40]
	v_add_f64 v[3:4], v[3:4], v[41:42]
	v_fma_f64 v[39:40], v[158:159], s[16:17], v[162:163]
	v_fma_f64 v[41:42], v[158:159], s[6:7], v[162:163]
	v_add_f64 v[23:24], v[23:24], v[37:38]
	v_add_f64 v[158:159], v[57:58], -v[66:67]
	v_add_f64 v[162:163], v[53:54], -v[64:65]
	v_add_f64 v[5:6], v[5:6], v[43:44]
	v_add_f64 v[27:28], v[3:4], v[45:46]
	v_add_f64 v[3:4], v[43:44], -v[47:48]
	v_fma_f64 v[37:38], v[156:157], s[0:1], v[41:42]
	v_add_f64 v[29:30], v[5:6], v[47:48]
	v_fma_f64 v[5:6], v[33:34], s[6:7], v[160:161]
	v_fma_f64 v[33:34], v[33:34], s[16:17], v[160:161]
	v_add_f64 v[3:4], v[35:36], v[3:4]
	v_add_f64 v[160:161], v[49:50], -v[68:69]
	v_fma_f64 v[5:6], v[31:32], s[0:1], v[5:6]
	v_fma_f64 v[35:36], v[31:32], s[2:3], v[33:34]
	;; [unrolled: 1-line block ×4, first 2 shown]
	v_add_f64 v[39:40], v[57:58], v[66:67]
	v_add_f64 v[156:157], v[51:52], -v[70:71]
	v_fma_f64 v[31:32], v[23:24], s[18:19], v[5:6]
	v_add_f64 v[5:6], v[68:69], -v[64:65]
	v_fma_f64 v[33:34], v[3:4], s[18:19], v[33:34]
	;; [unrolled: 2-line block ×3, first 2 shown]
	v_add_f64 v[23:24], v[70:71], -v[66:67]
	v_fma_f64 v[43:44], v[39:40], -0.5, v[9:10]
	v_add_f64 v[3:4], v[3:4], v[5:6]
	v_add_f64 v[5:6], v[51:52], -v[57:58]
	v_fma_f64 v[41:42], v[160:161], s[6:7], v[43:44]
	v_fma_f64 v[43:44], v[160:161], s[16:17], v[43:44]
	v_add_f64 v[5:6], v[5:6], v[23:24]
	v_add_f64 v[23:24], v[53:54], v[64:65]
	v_fma_f64 v[41:42], v[162:163], s[2:3], v[41:42]
	v_fma_f64 v[45:46], v[162:163], s[0:1], v[43:44]
	v_fma_f64 v[23:24], v[23:24], -0.5, v[7:8]
	v_fma_f64 v[41:42], v[5:6], s[18:19], v[41:42]
	v_fma_f64 v[45:46], v[5:6], s[18:19], v[45:46]
	v_add_f64 v[5:6], v[51:52], v[70:71]
	v_fma_f64 v[39:40], v[156:157], s[16:17], v[23:24]
	v_fma_f64 v[23:24], v[156:157], s[6:7], v[23:24]
	v_fma_f64 v[5:6], v[5:6], -0.5, v[9:10]
	v_add_f64 v[9:10], v[9:10], v[51:52]
	v_add_f64 v[51:52], v[57:58], -v[51:52]
	v_fma_f64 v[39:40], v[158:159], s[0:1], v[39:40]
	v_fma_f64 v[23:24], v[158:159], s[2:3], v[23:24]
	v_add_f64 v[9:10], v[9:10], v[57:58]
	v_fma_f64 v[57:58], v[162:163], s[16:17], v[5:6]
	v_fma_f64 v[5:6], v[162:163], s[6:7], v[5:6]
	;; [unrolled: 1-line block ×4, first 2 shown]
	v_add_f64 v[3:4], v[49:50], v[68:69]
	v_add_f64 v[23:24], v[53:54], -v[49:50]
	v_add_f64 v[9:10], v[9:10], v[66:67]
	v_fma_f64 v[5:6], v[160:161], s[0:1], v[5:6]
	v_fma_f64 v[3:4], v[3:4], -0.5, v[7:8]
	v_add_f64 v[7:8], v[7:8], v[49:50]
	v_add_f64 v[49:50], v[9:10], v[70:71]
	v_fma_f64 v[9:10], v[158:159], s[6:7], v[3:4]
	v_add_f64 v[7:8], v[7:8], v[53:54]
	v_add_f64 v[53:54], v[64:65], -v[68:69]
	v_fma_f64 v[3:4], v[158:159], s[16:17], v[3:4]
	v_fma_f64 v[9:10], v[156:157], s[0:1], v[9:10]
	v_add_f64 v[7:8], v[7:8], v[64:65]
	v_add_f64 v[23:24], v[23:24], v[53:54]
	v_fma_f64 v[3:4], v[156:157], s[2:3], v[3:4]
	v_fma_f64 v[53:54], v[160:161], s[2:3], v[57:58]
	v_add_f64 v[57:58], v[74:75], -v[172:173]
	v_add_f64 v[64:65], v[164:165], -v[168:169]
	v_add_f64 v[47:48], v[7:8], v[68:69]
	v_add_f64 v[7:8], v[66:67], -v[70:71]
	v_fma_f64 v[156:157], v[23:24], s[18:19], v[3:4]
	v_add_f64 v[3:4], v[72:73], -v[105:106]
	v_add_f64 v[68:69], v[72:73], -v[170:171]
	;; [unrolled: 1-line block ×3, first 2 shown]
	v_add_f64 v[7:8], v[51:52], v[7:8]
	v_fma_f64 v[51:52], v[23:24], s[18:19], v[9:10]
	v_add_f64 v[23:24], v[164:165], v[168:169]
	v_fma_f64 v[158:159], v[7:8], s[18:19], v[5:6]
	v_add_f64 v[5:6], v[170:171], -v[166:167]
	v_fma_f64 v[53:54], v[7:8], s[18:19], v[53:54]
	v_add_f64 v[7:8], v[172:173], -v[168:169]
	v_fma_f64 v[23:24], v[23:24], -0.5, v[13:14]
	v_add_f64 v[3:4], v[3:4], v[5:6]
	v_add_f64 v[5:6], v[74:75], -v[164:165]
	v_fma_f64 v[160:161], v[68:69], s[6:7], v[23:24]
	v_fma_f64 v[23:24], v[68:69], s[16:17], v[23:24]
	v_add_f64 v[6:7], v[5:6], v[7:8]
	v_add_f64 v[8:9], v[105:106], v[166:167]
	v_fma_f64 v[162:163], v[70:71], s[2:3], v[160:161]
	v_fma_f64 v[23:24], v[70:71], s[0:1], v[23:24]
	v_fma_f64 v[8:9], v[8:9], -0.5, v[11:12]
	v_fma_f64 v[162:163], v[6:7], s[18:19], v[162:163]
	v_fma_f64 v[6:7], v[6:7], s[18:19], v[23:24]
	v_fma_f64 v[66:67], v[57:58], s[16:17], v[8:9]
	v_fma_f64 v[8:9], v[57:58], s[6:7], v[8:9]
	v_fma_f64 v[66:67], v[64:65], s[0:1], v[66:67]
	v_fma_f64 v[8:9], v[64:65], s[2:3], v[8:9]
	v_fma_f64 v[160:161], v[3:4], s[18:19], v[66:67]
	v_fma_f64 v[4:5], v[3:4], s[18:19], v[8:9]
	v_add_f64 v[8:9], v[72:73], v[170:171]
	v_mov_b32_e32 v3, 0x87
	v_mul_u32_u24_sdwa v1, v1, v3 dst_sel:DWORD dst_unused:UNUSED_PAD src0_sel:WORD_0 src1_sel:DWORD
	v_add_lshl_u32 v1, v1, v2, 4
	ds_write_b128 v1, v[27:30]
	ds_write_b128 v1, v[15:18] offset:432
	ds_write_b128 v1, v[31:34] offset:864
	;; [unrolled: 1-line block ×3, first 2 shown]
	buffer_store_dword v1, off, s[28:31], 0 offset:600 ; 4-byte Folded Spill
	ds_write_b128 v1, v[19:22] offset:1728
	v_mul_u32_u24_sdwa v1, v25, v3 dst_sel:DWORD dst_unused:UNUSED_PAD src0_sel:WORD_0 src1_sel:DWORD
                                        ; implicit-def: $vgpr16_vgpr17
                                        ; implicit-def: $vgpr20_vgpr21
                                        ; implicit-def: $vgpr28_vgpr29
                                        ; implicit-def: $vgpr32_vgpr33
	v_fma_f64 v[23:24], v[8:9], -0.5, v[11:12]
	v_add_f64 v[8:9], v[74:75], v[172:173]
	v_fma_f64 v[66:67], v[8:9], -0.5, v[13:14]
	v_add_f64 v[8:9], v[11:12], v[72:73]
	v_add_f64 v[10:11], v[13:14], v[74:75]
	v_add_f64 v[12:13], v[105:106], -v[72:73]
	v_add_f64 v[72:73], v[164:165], -v[74:75]
	;; [unrolled: 1-line block ×3, first 2 shown]
	v_add_f64 v[8:9], v[8:9], v[105:106]
	v_add_f64 v[10:11], v[10:11], v[164:165]
	v_add_f64 v[105:106], v[168:169], -v[172:173]
	v_fma_f64 v[164:165], v[64:65], s[6:7], v[23:24]
	v_fma_f64 v[23:24], v[64:65], s[16:17], v[23:24]
	;; [unrolled: 1-line block ×4, first 2 shown]
	v_add_f64 v[12:13], v[12:13], v[74:75]
	v_add_f64 v[8:9], v[8:9], v[166:167]
	;; [unrolled: 1-line block ×4, first 2 shown]
	v_fma_f64 v[72:73], v[57:58], s[0:1], v[164:165]
	v_fma_f64 v[23:24], v[57:58], s[2:3], v[23:24]
	;; [unrolled: 1-line block ×4, first 2 shown]
	v_add_lshl_u32 v105, v1, v0, 4
	v_mul_u32_u24_sdwa v0, v55, v3 dst_sel:DWORD dst_unused:UNUSED_PAD src0_sel:WORD_0 src1_sel:DWORD
	ds_write_b128 v105, v[47:50]
	ds_write_b128 v105, v[39:42] offset:432
	ds_write_b128 v105, v[51:54] offset:864
	;; [unrolled: 1-line block ×4, first 2 shown]
	v_add_lshl_u32 v2, v0, v59, 4
	s_load_dwordx2 s[2:3], s[4:5], 0x38
	v_add_f64 v[8:9], v[8:9], v[170:171]
	v_add_f64 v[10:11], v[10:11], v[172:173]
	v_fma_f64 v[164:165], v[12:13], s[18:19], v[72:73]
	v_fma_f64 v[168:169], v[12:13], s[18:19], v[23:24]
	;; [unrolled: 1-line block ×4, first 2 shown]
	ds_write_b128 v2, v[8:11]
	ds_write_b128 v2, v[160:163] offset:432
	ds_write_b128 v2, v[164:167] offset:864
	;; [unrolled: 1-line block ×3, first 2 shown]
	buffer_store_dword v2, off, s[28:31], 0 offset:636 ; 4-byte Folded Spill
	ds_write_b128 v2, v[4:7] offset:1728
	s_waitcnt lgkmcnt(0)
	s_waitcnt_vscnt null, 0x0
	s_barrier
	buffer_gl0_inv
	ds_read_b128 v[12:15], v104
	ds_read_b128 v[8:11], v104 offset:1008
	ds_read_b128 v[40:43], v104 offset:2160
	;; [unrolled: 1-line block ×13, first 2 shown]
	s_and_saveexec_b32 s0, vcc_lo
	s_cbranch_execz .LBB0_3
; %bb.2:
	ds_read_b128 v[4:7], v104 offset:2016
	ds_read_b128 v[16:19], v104 offset:4176
	;; [unrolled: 1-line block ×7, first 2 shown]
.LBB0_3:
	s_or_b32 exec_lo, exec_lo, s0
	buffer_load_dword v57, off, s[28:31], 0 ; 4-byte Folded Reload
	s_mov_b32 s18, 0xe976ee23
	s_mov_b32 s19, 0xbfe11646
	;; [unrolled: 1-line block ×16, first 2 shown]
	s_waitcnt vmcnt(0)
	v_mad_u64_u32 v[44:45], null, 0x60, v57, s[14:15]
	v_add_co_u32 v0, s0, 0x800, v44
	v_add_co_ci_u32_e64 v1, s0, 0, v45, s0
	v_add_co_u32 v2, s0, 0x840, v44
	v_add_co_ci_u32_e64 v3, s0, 0, v45, s0
	s_clause 0x4
	global_load_dwordx4 v[156:159], v[0:1], off offset:64
	global_load_dwordx4 v[248:251], v[2:3], off offset:16
	;; [unrolled: 1-line block ×5, first 2 shown]
	v_add_co_u32 v0, s0, 0x880, v44
	v_add_co_ci_u32_e64 v1, s0, 0, v45, s0
	v_add_co_u32 v46, s0, 0x1800, v44
	v_add_co_ci_u32_e64 v47, s0, 0, v45, s0
	s_clause 0x1
	global_load_dwordx4 v[0:3], v[0:1], off offset:16
	global_load_dwordx4 v[216:219], v[46:47], off offset:2016
	s_waitcnt vmcnt(6) lgkmcnt(11)
	v_mul_f64 v[46:47], v[42:43], v[158:159]
	s_waitcnt vmcnt(5) lgkmcnt(9)
	v_mul_f64 v[50:51], v[38:39], v[250:251]
	v_mul_f64 v[48:49], v[40:41], v[158:159]
	v_fma_f64 v[64:65], v[40:41], v[156:157], -v[46:47]
	v_mul_f64 v[40:41], v[36:37], v[250:251]
	v_fma_f64 v[68:69], v[36:37], v[248:249], -v[50:51]
	s_waitcnt vmcnt(4) lgkmcnt(7)
	v_mul_f64 v[36:37], v[244:245], v[222:223]
	v_fma_f64 v[66:67], v[42:43], v[156:157], v[48:49]
	v_mul_f64 v[42:43], v[246:247], v[222:223]
	v_fma_f64 v[70:71], v[38:39], v[248:249], v[40:41]
	s_waitcnt vmcnt(3) lgkmcnt(5)
	v_mul_f64 v[38:39], v[242:243], v[226:227]
	v_fma_f64 v[74:75], v[246:247], v[220:221], v[36:37]
	v_mul_f64 v[36:37], v[240:241], v[226:227]
	s_waitcnt vmcnt(2) lgkmcnt(3)
	v_mul_f64 v[40:41], v[238:239], v[254:255]
	v_fma_f64 v[72:73], v[244:245], v[220:221], -v[42:43]
	v_fma_f64 v[106:107], v[240:241], v[224:225], -v[38:39]
	s_waitcnt vmcnt(1) lgkmcnt(1)
	v_mul_f64 v[38:39], v[230:231], v[2:3]
	v_fma_f64 v[76:77], v[242:243], v[224:225], v[36:37]
	v_mul_f64 v[36:37], v[236:237], v[254:255]
	v_fma_f64 v[78:79], v[236:237], v[252:253], -v[40:41]
	v_add_co_u32 v40, s0, 0x1fe0, v44
	v_add_co_ci_u32_e64 v41, s0, 0, v45, s0
	v_fma_f64 v[82:83], v[228:229], v[0:1], -v[38:39]
	v_fma_f64 v[80:81], v[238:239], v[252:253], v[36:37]
	v_mul_f64 v[36:37], v[228:229], v[2:3]
	v_fma_f64 v[84:85], v[230:231], v[0:1], v[36:37]
	s_waitcnt vmcnt(0)
	v_mul_f64 v[36:37], v[234:235], v[218:219]
	global_load_dwordx4 v[228:231], v[40:41], off offset:48
	v_fma_f64 v[38:39], v[232:233], v[216:217], -v[36:37]
	v_mul_f64 v[36:37], v[232:233], v[218:219]
	v_fma_f64 v[36:37], v[234:235], v[216:217], v[36:37]
	s_clause 0x1
	global_load_dwordx4 v[236:239], v[40:41], off offset:16
	global_load_dwordx4 v[232:235], v[40:41], off offset:32
	s_waitcnt vmcnt(1)
	v_mul_f64 v[40:41], v[174:175], v[238:239]
	v_fma_f64 v[46:47], v[172:173], v[236:237], -v[40:41]
	v_mul_f64 v[40:41], v[172:173], v[238:239]
	v_fma_f64 v[42:43], v[174:175], v[236:237], v[40:41]
	s_waitcnt vmcnt(0)
	v_mul_f64 v[40:41], v[170:171], v[234:235]
	v_add_f64 v[174:175], v[72:73], v[106:107]
	v_fma_f64 v[50:51], v[168:169], v[232:233], -v[40:41]
	v_mul_f64 v[40:41], v[168:169], v[234:235]
	v_fma_f64 v[48:49], v[170:171], v[232:233], v[40:41]
	v_mul_f64 v[40:41], v[166:167], v[230:231]
	v_fma_f64 v[54:55], v[164:165], v[228:229], -v[40:41]
	v_mul_f64 v[40:41], v[164:165], v[230:231]
	v_add_f64 v[94:95], v[50:51], v[54:55]
	v_fma_f64 v[52:53], v[166:167], v[228:229], v[40:41]
	v_add_co_u32 v40, s0, 0x2000, v44
	v_add_co_ci_u32_e64 v41, s0, 0, v45, s0
	v_add_co_u32 v44, s0, 0x2020, v44
	v_add_co_ci_u32_e64 v45, s0, 0, v45, s0
	s_clause 0x1
	global_load_dwordx4 v[240:243], v[40:41], off offset:32
	global_load_dwordx4 v[244:247], v[44:45], off offset:16
	v_add_f64 v[102:103], v[48:49], v[52:53]
	v_add_f64 v[48:49], v[52:53], -v[48:49]
	s_waitcnt vmcnt(1)
	v_mul_f64 v[40:41], v[162:163], v[242:243]
	v_fma_f64 v[164:165], v[160:161], v[240:241], -v[40:41]
	v_mul_f64 v[40:41], v[160:161], v[242:243]
	v_fma_f64 v[162:163], v[162:163], v[240:241], v[40:41]
	s_waitcnt vmcnt(0) lgkmcnt(0)
	v_mul_f64 v[40:41], v[26:27], v[246:247]
	v_add_f64 v[100:101], v[42:43], v[162:163]
	v_fma_f64 v[168:169], v[24:25], v[244:245], -v[40:41]
	v_mul_f64 v[24:25], v[24:25], v[246:247]
	v_add_f64 v[42:43], v[42:43], -v[162:163]
	v_fma_f64 v[166:167], v[26:27], v[244:245], v[24:25]
	v_add_nc_u32_e32 v24, -9, v57
	v_cndmask_b32_e32 v24, v24, v56, vcc_lo
	v_mul_i32_i24_e32 v25, 0x60, v24
	v_mul_hi_i32_i24_e32 v24, 0x60, v24
	v_add_co_u32 v58, s0, s14, v25
	v_add_co_ci_u32_e64 v59, s0, s15, v24, s0
	s_mov_b32 s14, 0xaaaaaaaa
	v_add_co_u32 v56, s0, 0x800, v58
	v_add_co_ci_u32_e64 v57, s0, 0, v59, s0
	v_add_co_u32 v26, s0, 0x840, v58
	v_add_co_ci_u32_e64 v27, s0, 0, v59, s0
	s_clause 0x1
	global_load_dwordx4 v[60:63], v[56:57], off offset:64
	global_load_dwordx4 v[86:89], v[26:27], off offset:48
	v_add_co_u32 v58, s0, 0x880, v58
	v_add_co_ci_u32_e64 v59, s0, 0, v59, s0
	v_add_f64 v[98:99], v[36:37], v[166:167]
	s_mov_b32 s0, 0x36b3c0b5
	s_mov_b32 s1, 0x3fac98ee
	;; [unrolled: 1-line block ×3, first 2 shown]
	s_waitcnt vmcnt(1)
	v_mul_f64 v[24:25], v[18:19], v[62:63]
	s_waitcnt vmcnt(0)
	v_mul_f64 v[40:41], v[182:183], v[88:89]
	v_fma_f64 v[24:25], v[16:17], v[60:61], -v[24:25]
	v_mul_f64 v[16:17], v[16:17], v[62:63]
	buffer_store_dword v60, off, s[28:31], 0 offset:640 ; 4-byte Folded Spill
	buffer_store_dword v61, off, s[28:31], 0 offset:644 ; 4-byte Folded Spill
	;; [unrolled: 1-line block ×4, first 2 shown]
	v_fma_f64 v[44:45], v[180:181], v[86:87], -v[40:41]
	v_mul_f64 v[40:41], v[180:181], v[88:89]
	v_add_f64 v[180:181], v[70:71], v[80:81]
	v_fma_f64 v[16:17], v[18:19], v[60:61], v[16:17]
	s_clause 0x1
	global_load_dwordx4 v[90:93], v[26:27], off offset:16
	global_load_dwordx4 v[60:63], v[26:27], off offset:32
	s_waitcnt vmcnt(1)
	v_mul_f64 v[18:19], v[22:23], v[92:93]
	v_fma_f64 v[26:27], v[20:21], v[90:91], -v[18:19]
	v_mul_f64 v[18:19], v[20:21], v[92:93]
	buffer_store_dword v90, off, s[28:31], 0 offset:688 ; 4-byte Folded Spill
	buffer_store_dword v91, off, s[28:31], 0 offset:692 ; 4-byte Folded Spill
	;; [unrolled: 1-line block ×4, first 2 shown]
	s_waitcnt vmcnt(0)
	v_mul_f64 v[20:21], v[178:179], v[62:63]
	v_add_f64 v[92:93], v[46:47], v[164:165]
	v_fma_f64 v[18:19], v[22:23], v[90:91], v[18:19]
	v_fma_f64 v[22:23], v[176:177], v[60:61], -v[20:21]
	v_mul_f64 v[20:21], v[176:177], v[62:63]
	buffer_store_dword v60, off, s[28:31], 0 offset:672 ; 4-byte Folded Spill
	buffer_store_dword v61, off, s[28:31], 0 offset:676 ; 4-byte Folded Spill
	;; [unrolled: 1-line block ×8, first 2 shown]
	v_add_f64 v[90:91], v[38:39], v[168:169]
	v_add_f64 v[38:39], v[38:39], -v[168:169]
	v_add_f64 v[110:111], v[22:23], v[44:45]
	v_add_f64 v[22:23], v[44:45], -v[22:23]
	v_add_f64 v[52:53], v[92:93], -v[90:91]
	v_fma_f64 v[20:21], v[178:179], v[60:61], v[20:21]
	v_fma_f64 v[40:41], v[182:183], v[86:87], v[40:41]
	s_clause 0x1
	global_load_dwordx4 v[60:63], v[56:57], off offset:128
	global_load_dwordx4 v[86:89], v[58:59], off offset:16
	v_add_f64 v[178:179], v[66:67], v[84:85]
	v_add_f64 v[182:183], v[74:75], v[76:77]
	v_add_f64 v[66:67], v[66:67], -v[84:85]
	v_add_f64 v[118:119], v[20:21], v[40:41]
	v_add_f64 v[20:21], v[40:41], -v[20:21]
	s_waitcnt vmcnt(1)
	v_mul_f64 v[56:57], v[30:31], v[62:63]
	v_fma_f64 v[58:59], v[28:29], v[60:61], -v[56:57]
	v_mul_f64 v[28:29], v[28:29], v[62:63]
	buffer_store_dword v60, off, s[28:31], 0 offset:704 ; 4-byte Folded Spill
	buffer_store_dword v61, off, s[28:31], 0 offset:708 ; 4-byte Folded Spill
	;; [unrolled: 1-line block ×4, first 2 shown]
	v_add_f64 v[108:109], v[26:27], v[58:59]
	v_add_f64 v[26:27], v[26:27], -v[58:59]
	v_add_f64 v[44:45], v[22:23], v[26:27]
	v_fma_f64 v[56:57], v[30:31], v[60:61], v[28:29]
	s_waitcnt vmcnt(0)
	v_mul_f64 v[28:29], v[34:35], v[88:89]
	v_add_f64 v[116:117], v[18:19], v[56:57]
	v_fma_f64 v[160:161], v[32:33], v[86:87], -v[28:29]
	v_mul_f64 v[28:29], v[32:33], v[88:89]
	buffer_store_dword v86, off, s[28:31], 0 offset:720 ; 4-byte Folded Spill
	buffer_store_dword v87, off, s[28:31], 0 offset:724 ; 4-byte Folded Spill
	;; [unrolled: 1-line block ×4, first 2 shown]
	v_add_f64 v[18:19], v[18:19], -v[56:57]
	v_add_f64 v[62:63], v[24:25], v[160:161]
	v_add_f64 v[24:25], v[24:25], -v[160:161]
	v_add_f64 v[58:59], v[20:21], -v[18:19]
	v_add_f64 v[56:57], v[20:21], v[18:19]
	v_add_f64 v[44:45], v[44:45], v[24:25]
	v_mul_f64 v[58:59], v[58:59], s[18:19]
	v_fma_f64 v[32:33], v[34:35], v[86:87], v[28:29]
	v_add_f64 v[34:35], v[64:65], v[82:83]
	v_add_f64 v[86:87], v[68:69], v[78:79]
	v_add_f64 v[64:65], v[64:65], -v[82:83]
	v_add_f64 v[114:115], v[16:17], v[32:33]
	v_add_f64 v[16:17], v[16:17], -v[32:33]
	;; [unrolled: 2-line block ×3, first 2 shown]
	v_add_f64 v[40:41], v[116:117], -v[114:115]
	v_add_f64 v[18:19], v[18:19], -v[16:17]
	v_add_f64 v[176:177], v[174:175], v[28:29]
	v_add_f64 v[28:29], v[180:181], v[178:179]
	;; [unrolled: 1-line block ×3, first 2 shown]
	v_add_f64 v[16:17], v[16:17], -v[20:21]
	v_add_f64 v[170:171], v[12:13], v[176:177]
	v_add_f64 v[12:13], v[92:93], v[90:91]
	;; [unrolled: 1-line block ×3, first 2 shown]
	v_fma_f64 v[124:125], v[176:177], s[14:15], v[170:171]
	v_add_f64 v[96:97], v[94:95], v[12:13]
	v_add_f64 v[12:13], v[100:101], v[98:99]
	v_add_f64 v[172:173], v[14:15], v[88:89]
	v_add_f64 v[60:61], v[102:103], v[12:13]
	v_add_f64 v[12:13], v[8:9], v[96:97]
	v_add_f64 v[8:9], v[108:109], v[62:63]
	v_fma_f64 v[88:89], v[88:89], s[14:15], v[172:173]
	v_add_f64 v[14:15], v[10:11], v[60:61]
	v_add_f64 v[112:113], v[110:111], v[8:9]
	;; [unrolled: 1-line block ×3, first 2 shown]
	v_fma_f64 v[60:61], v[60:61], s[14:15], v[14:15]
	v_add_f64 v[28:29], v[4:5], v[112:113]
	v_add_f64 v[120:121], v[118:119], v[8:9]
	v_add_f64 v[4:5], v[68:69], -v[78:79]
	v_add_f64 v[68:69], v[106:107], -v[72:73]
	;; [unrolled: 1-line block ×5, first 2 shown]
	v_add_f64 v[30:31], v[6:7], v[120:121]
	v_add_f64 v[6:7], v[70:71], -v[80:81]
	v_add_f64 v[70:71], v[76:77], -v[74:75]
	;; [unrolled: 1-line block ×4, first 2 shown]
	v_add_f64 v[8:9], v[68:69], v[4:5]
	v_add_f64 v[80:81], v[4:5], -v[64:65]
	v_add_f64 v[76:77], v[180:181], -v[178:179]
	v_mul_f64 v[34:35], v[34:35], s[22:23]
	v_add_f64 v[84:85], v[6:7], -v[66:67]
	v_add_f64 v[4:5], v[70:71], v[6:7]
	v_add_f64 v[82:83], v[70:71], -v[6:7]
	v_mul_f64 v[122:123], v[10:11], s[18:19]
	v_add_f64 v[86:87], v[8:9], v[64:65]
	v_mul_f64 v[6:7], v[78:79], s[0:1]
	v_add_f64 v[64:65], v[64:65], -v[68:69]
	v_mul_f64 v[68:69], v[80:81], s[6:7]
	v_add_f64 v[106:107], v[4:5], v[66:67]
	v_mul_f64 v[82:83], v[82:83], s[18:19]
	v_mul_f64 v[4:5], v[74:75], s[0:1]
	v_fma_f64 v[8:9], v[80:81], s[6:7], -v[122:123]
	v_add_f64 v[66:67], v[66:67], -v[70:71]
	v_mul_f64 v[70:71], v[84:85], s[6:7]
	v_fma_f64 v[6:7], v[76:77], s[16:17], -v[6:7]
	v_fma_f64 v[68:69], v[64:65], s[26:27], -v[68:69]
	v_fma_f64 v[64:65], v[64:65], s[20:21], v[122:123]
	v_fma_f64 v[4:5], v[72:73], s[16:17], -v[4:5]
	v_fma_f64 v[10:11], v[86:87], s[4:5], v[8:9]
	v_fma_f64 v[8:9], v[84:85], s[6:7], -v[82:83]
	v_fma_f64 v[70:71], v[66:67], s[26:27], -v[70:71]
	;; [unrolled: 1-line block ×3, first 2 shown]
	v_add_f64 v[176:177], v[6:7], v[88:89]
	v_fma_f64 v[68:69], v[86:87], s[4:5], v[68:69]
	v_fma_f64 v[66:67], v[66:67], s[20:21], v[82:83]
	;; [unrolled: 1-line block ×3, first 2 shown]
	v_add_f64 v[126:127], v[4:5], v[124:125]
	v_fma_f64 v[8:9], v[106:107], s[4:5], v[8:9]
	v_fma_f64 v[70:71], v[106:107], s[4:5], v[70:71]
	v_add_f64 v[72:73], v[72:73], v[124:125]
	v_add_f64 v[6:7], v[10:11], v[176:177]
	v_add_f64 v[10:11], v[176:177], -v[10:11]
	v_add_f64 v[34:35], v[34:35], v[124:125]
	v_add_f64 v[4:5], v[126:127], -v[8:9]
	;; [unrolled: 2-line block ×4, first 2 shown]
	v_fma_f64 v[72:73], v[106:107], s[4:5], v[66:67]
	v_fma_f64 v[70:71], v[86:87], s[4:5], v[64:65]
	v_fma_f64 v[86:87], v[96:97], s[14:15], v[12:13]
	v_mul_f64 v[80:81], v[126:127], s[22:23]
	v_add_f64 v[64:65], v[72:73], v[34:35]
	v_fma_f64 v[76:77], v[76:77], s[24:25], -v[80:81]
	v_add_f64 v[76:77], v[76:77], v[88:89]
	v_add_f64 v[176:177], v[76:77], -v[68:69]
	v_add_f64 v[180:181], v[68:69], v[76:77]
	v_fma_f64 v[68:69], v[78:79], s[0:1], v[80:81]
	v_add_f64 v[80:81], v[48:49], -v[42:43]
	v_add_f64 v[74:75], v[68:69], v[88:89]
	v_add_f64 v[68:69], v[34:35], -v[72:73]
	v_add_f64 v[34:35], v[46:47], -v[164:165]
	;; [unrolled: 1-line block ×6, first 2 shown]
	v_mul_f64 v[80:81], v[80:81], s[18:19]
	v_add_f64 v[66:67], v[74:75], -v[70:71]
	v_add_f64 v[70:71], v[70:71], v[74:75]
	v_add_f64 v[74:75], v[102:103], -v[100:101]
	v_add_f64 v[36:37], v[46:47], v[34:35]
	v_add_f64 v[76:77], v[46:47], -v[34:35]
	v_add_f64 v[78:79], v[34:35], -v[38:39]
	v_add_f64 v[34:35], v[48:49], v[42:43]
	v_add_f64 v[42:43], v[42:43], -v[50:51]
	v_add_f64 v[82:83], v[36:37], v[38:39]
	v_mul_f64 v[76:77], v[76:77], s[18:19]
	v_mul_f64 v[36:37], v[74:75], s[0:1]
	v_add_f64 v[84:85], v[34:35], v[50:51]
	v_mul_f64 v[34:35], v[54:55], s[0:1]
	v_add_f64 v[38:39], v[38:39], -v[46:47]
	v_add_f64 v[46:47], v[50:51], -v[48:49]
	v_mul_f64 v[48:49], v[78:79], s[6:7]
	v_fma_f64 v[92:93], v[42:43], s[6:7], -v[80:81]
	v_mul_f64 v[42:43], v[42:43], s[6:7]
	v_fma_f64 v[88:89], v[78:79], s[6:7], -v[76:77]
	v_fma_f64 v[36:37], v[72:73], s[16:17], -v[36:37]
	;; [unrolled: 1-line block ×4, first 2 shown]
	v_fma_f64 v[38:39], v[38:39], s[20:21], v[76:77]
	v_fma_f64 v[42:43], v[46:47], s[26:27], -v[42:43]
	v_fma_f64 v[92:93], v[84:85], s[4:5], v[92:93]
	v_fma_f64 v[88:89], v[82:83], s[4:5], v[88:89]
	v_add_f64 v[100:101], v[36:37], v[60:61]
	v_add_f64 v[96:97], v[34:35], v[86:87]
	v_fma_f64 v[38:39], v[82:83], s[4:5], v[38:39]
	v_fma_f64 v[42:43], v[84:85], s[4:5], v[42:43]
	v_add_f64 v[36:37], v[88:89], v[100:101]
	v_add_f64 v[164:165], v[100:101], -v[88:89]
	v_add_f64 v[88:89], v[90:91], -v[94:95]
	;; [unrolled: 1-line block ×4, first 2 shown]
	v_add_f64 v[162:163], v[92:93], v[96:97]
	v_mul_f64 v[78:79], v[88:89], s[22:23]
	v_mul_f64 v[88:89], v[90:91], s[22:23]
	v_fma_f64 v[50:51], v[52:53], s[24:25], -v[78:79]
	v_fma_f64 v[52:53], v[72:73], s[24:25], -v[88:89]
	v_fma_f64 v[72:73], v[82:83], s[4:5], v[48:49]
	v_add_f64 v[48:49], v[50:51], v[86:87]
	v_add_f64 v[50:51], v[52:53], v[60:61]
	v_fma_f64 v[52:53], v[74:75], s[0:1], v[88:89]
	v_add_f64 v[166:167], v[42:43], v[48:49]
	v_add_f64 v[48:49], v[48:49], -v[42:43]
	v_add_f64 v[60:61], v[52:53], v[60:61]
	v_fma_f64 v[42:43], v[46:47], s[20:21], v[80:81]
	v_fma_f64 v[46:47], v[54:55], s[0:1], v[78:79]
	;; [unrolled: 1-line block ×3, first 2 shown]
	v_add_f64 v[168:169], v[50:51], -v[72:73]
	v_add_f64 v[50:51], v[72:73], v[50:51]
	v_fma_f64 v[80:81], v[120:121], s[14:15], v[30:31]
	v_add_f64 v[54:55], v[60:61], -v[38:39]
	v_add_f64 v[74:75], v[38:39], v[60:61]
	v_add_f64 v[38:39], v[110:111], -v[108:109]
	v_fma_f64 v[42:43], v[84:85], s[4:5], v[42:43]
	v_add_f64 v[46:47], v[46:47], v[86:87]
	v_fma_f64 v[84:85], v[18:19], s[6:7], -v[58:59]
	v_mul_f64 v[18:19], v[18:19], s[6:7]
	v_mul_f64 v[60:61], v[38:39], s[0:1]
	v_add_f64 v[52:53], v[42:43], v[46:47]
	v_add_f64 v[72:73], v[46:47], -v[42:43]
	v_add_f64 v[42:43], v[118:119], -v[116:117]
	;; [unrolled: 1-line block ×3, first 2 shown]
	v_fma_f64 v[84:85], v[56:57], s[4:5], v[84:85]
	v_add_f64 v[26:27], v[26:27], -v[24:25]
	v_add_f64 v[24:25], v[24:25], -v[22:23]
	v_fma_f64 v[18:19], v[16:17], s[26:27], -v[18:19]
	v_fma_f64 v[16:17], v[16:17], s[20:21], v[58:59]
	v_fma_f64 v[60:61], v[32:33], s[16:17], -v[60:61]
	v_mul_f64 v[76:77], v[42:43], s[0:1]
	v_mul_f64 v[46:47], v[46:47], s[18:19]
	v_mul_f64 v[20:21], v[26:27], s[6:7]
	v_fma_f64 v[18:19], v[56:57], s[4:5], v[18:19]
	v_add_f64 v[60:61], v[60:61], v[78:79]
	v_fma_f64 v[76:77], v[40:41], s[16:17], -v[76:77]
	v_fma_f64 v[82:83], v[26:27], s[6:7], -v[46:47]
	v_fma_f64 v[20:21], v[24:25], s[26:27], -v[20:21]
	v_add_f64 v[86:87], v[60:61], -v[84:85]
	v_add_f64 v[84:85], v[84:85], v[60:61]
	v_add_f64 v[60:61], v[62:63], -v[110:111]
	v_add_f64 v[62:63], v[114:115], -v[118:119]
	v_add_f64 v[76:77], v[76:77], v[80:81]
	v_fma_f64 v[82:83], v[44:45], s[4:5], v[82:83]
	v_mul_f64 v[26:27], v[60:61], s[22:23]
	v_mul_f64 v[60:61], v[62:63], s[22:23]
	v_add_f64 v[88:89], v[82:83], v[76:77]
	buffer_store_dword v86, off, s[28:31], 0 offset:4 ; 4-byte Folded Spill
	buffer_store_dword v87, off, s[28:31], 0 offset:8 ; 4-byte Folded Spill
	;; [unrolled: 1-line block ×4, first 2 shown]
	v_fma_f64 v[22:23], v[32:33], s[24:25], -v[26:27]
	v_fma_f64 v[32:33], v[40:41], s[24:25], -v[60:61]
	v_fma_f64 v[40:41], v[44:45], s[4:5], v[20:21]
	v_add_f64 v[86:87], v[76:77], -v[82:83]
	buffer_store_dword v84, off, s[28:31], 0 offset:20 ; 4-byte Folded Spill
	buffer_store_dword v85, off, s[28:31], 0 offset:24 ; 4-byte Folded Spill
	;; [unrolled: 1-line block ×4, first 2 shown]
	v_add_f64 v[20:21], v[22:23], v[78:79]
	v_add_f64 v[22:23], v[32:33], v[80:81]
	;; [unrolled: 1-line block ×3, first 2 shown]
	v_add_f64 v[20:21], v[20:21], -v[18:19]
	v_fma_f64 v[18:19], v[24:25], s[20:21], v[46:47]
	v_fma_f64 v[24:25], v[38:39], s[0:1], v[26:27]
	;; [unrolled: 1-line block ×4, first 2 shown]
	v_add_f64 v[84:85], v[22:23], -v[40:41]
	v_add_f64 v[22:23], v[40:41], v[22:23]
	buffer_store_dword v82, off, s[28:31], 0 offset:36 ; 4-byte Folded Spill
	buffer_store_dword v83, off, s[28:31], 0 offset:40 ; 4-byte Folded Spill
	;; [unrolled: 1-line block ×4, first 2 shown]
	v_fma_f64 v[32:33], v[44:45], s[4:5], v[18:19]
	v_add_f64 v[24:25], v[24:25], v[78:79]
	v_add_f64 v[26:27], v[26:27], v[80:81]
	ds_write_b128 v104, v[170:173]
	ds_write_b128 v104, v[64:67] offset:2160
	ds_write_b128 v104, v[174:177] offset:4320
	ds_write_b128 v104, v[4:7] offset:6480
	ds_write_b128 v104, v[8:11] offset:8640
	ds_write_b128 v104, v[178:181] offset:10800
	ds_write_b128 v104, v[68:71] offset:12960
	ds_write_b128 v104, v[12:15] offset:1008
	ds_write_b128 v104, v[52:55] offset:3168
	ds_write_b128 v104, v[166:169] offset:5328
	ds_write_b128 v104, v[34:37] offset:7488
	ds_write_b128 v104, v[162:165] offset:9648
	ds_write_b128 v104, v[48:51] offset:11808
	ds_write_b128 v104, v[72:75] offset:13968
	v_add_f64 v[16:17], v[38:39], v[24:25]
	v_add_f64 v[18:19], v[26:27], -v[32:33]
	v_add_f64 v[24:25], v[24:25], -v[38:39]
	v_add_f64 v[26:27], v[32:33], v[26:27]
	s_and_saveexec_b32 s0, vcc_lo
	s_cbranch_execz .LBB0_5
; %bb.4:
	ds_write_b128 v104, v[28:31] offset:2016
	ds_write_b128 v104, v[16:19] offset:4176
	s_clause 0x3
	buffer_load_dword v4, off, s[28:31], 0 offset:36
	buffer_load_dword v5, off, s[28:31], 0 offset:40
	buffer_load_dword v6, off, s[28:31], 0 offset:44
	buffer_load_dword v7, off, s[28:31], 0 offset:48
	s_waitcnt vmcnt(0)
	ds_write_b128 v104, v[4:7] offset:6336
	s_clause 0x3
	buffer_load_dword v4, off, s[28:31], 0 offset:4
	buffer_load_dword v5, off, s[28:31], 0 offset:8
	buffer_load_dword v6, off, s[28:31], 0 offset:12
	buffer_load_dword v7, off, s[28:31], 0 offset:16
	s_waitcnt vmcnt(0)
	;; [unrolled: 7-line block ×3, first 2 shown]
	ds_write_b128 v104, v[4:7] offset:10656
	ds_write_b128 v104, v[20:23] offset:12816
	;; [unrolled: 1-line block ×3, first 2 shown]
.LBB0_5:
	s_or_b32 exec_lo, exec_lo, s0
	s_waitcnt lgkmcnt(0)
	s_waitcnt_vscnt null, 0x0
	s_barrier
	buffer_load_dword v4, off, s[28:31], 0  ; 4-byte Folded Reload
	s_waitcnt vmcnt(0)
	buffer_gl0_inv
	s_mov_b32 s5, 0x3febb67a
	s_mov_b32 s15, 0x3fee6f0e
	;; [unrolled: 1-line block ×4, first 2 shown]
	v_lshlrev_b32_e32 v4, 4, v4
	v_add_co_u32 v28, s0, s12, v4
	v_add_co_ci_u32_e64 v29, null, s13, 0, s0
	s_mov_b32 s13, 0x3fe2cf23
	v_add_co_u32 v4, s0, 0x3800, v28
	v_add_co_ci_u32_e64 v5, s0, 0, v29, s0
	v_add_co_u32 v34, s0, 0x4800, v28
	v_add_co_ci_u32_e64 v35, s0, 0, v29, s0
	global_load_dwordx4 v[4:7], v[4:5], off offset:784
	ds_read_b128 v[8:11], v104
	ds_read_b128 v[12:15], v104 offset:1008
	global_load_dwordx4 v[30:33], v[34:35], off offset:720
	s_waitcnt vmcnt(1) lgkmcnt(1)
	v_mul_f64 v[36:37], v[10:11], v[6:7]
	v_mul_f64 v[38:39], v[8:9], v[6:7]
	v_fma_f64 v[6:7], v[8:9], v[4:5], -v[36:37]
	v_fma_f64 v[8:9], v[10:11], v[4:5], v[38:39]
	v_add_co_u32 v4, s0, 0x6000, v28
	v_add_co_ci_u32_e64 v5, s0, 0, v29, s0
	s_clause 0x1
	global_load_dwordx4 v[34:37], v[34:35], off offset:1728
	global_load_dwordx4 v[38:41], v[4:5], off offset:624
	ds_read_b128 v[48:51], v104 offset:5040
	ds_read_b128 v[52:55], v104 offset:4032
	s_waitcnt vmcnt(1) lgkmcnt(1)
	v_mul_f64 v[10:11], v[50:51], v[36:37]
	v_mul_f64 v[36:37], v[48:49], v[36:37]
	v_fma_f64 v[48:49], v[48:49], v[34:35], -v[10:11]
	v_fma_f64 v[50:51], v[50:51], v[34:35], v[36:37]
	ds_read_b128 v[34:37], v104 offset:10080
	ds_read_b128 v[64:67], v104 offset:11088
	s_waitcnt vmcnt(0) lgkmcnt(1)
	v_mul_f64 v[10:11], v[36:37], v[40:41]
	v_mul_f64 v[40:41], v[34:35], v[40:41]
	v_fma_f64 v[34:35], v[34:35], v[38:39], -v[10:11]
	v_add_co_u32 v10, s0, 0x3b10, v28
	v_add_co_ci_u32_e64 v11, s0, 0, v29, s0
	v_fma_f64 v[36:37], v[36:37], v[38:39], v[40:41]
	s_clause 0x1
	global_load_dwordx4 v[38:41], v[10:11], off offset:1008
	global_load_dwordx4 v[68:71], v[10:11], off offset:2016
	s_waitcnt vmcnt(1)
	v_mul_f64 v[10:11], v[14:15], v[40:41]
	v_mul_f64 v[40:41], v[12:13], v[40:41]
	v_fma_f64 v[10:11], v[12:13], v[38:39], -v[10:11]
	v_fma_f64 v[12:13], v[14:15], v[38:39], v[40:41]
	v_add_co_u32 v14, s0, 0x5000, v28
	v_add_co_ci_u32_e64 v15, s0, 0, v29, s0
	s_clause 0x1
	global_load_dwordx4 v[38:41], v[4:5], off offset:1632
	global_load_dwordx4 v[72:75], v[14:15], off offset:688
	ds_read_b128 v[160:163], v104 offset:6048
	ds_read_b128 v[164:167], v104 offset:7056
	s_waitcnt vmcnt(0) lgkmcnt(1)
	v_mul_f64 v[4:5], v[162:163], v[74:75]
	v_mul_f64 v[42:43], v[160:161], v[74:75]
	v_fma_f64 v[160:161], v[160:161], v[72:73], -v[4:5]
	v_fma_f64 v[162:163], v[162:163], v[72:73], v[42:43]
	v_mul_f64 v[4:5], v[66:67], v[40:41]
	v_mul_f64 v[42:43], v[64:65], v[40:41]
	v_fma_f64 v[40:41], v[64:65], v[38:39], -v[4:5]
	v_fma_f64 v[42:43], v[66:67], v[38:39], v[42:43]
	ds_read_b128 v[64:67], v104 offset:2016
	ds_read_b128 v[72:75], v104 offset:3024
	s_waitcnt lgkmcnt(1)
	v_mul_f64 v[4:5], v[66:67], v[70:71]
	v_mul_f64 v[38:39], v[64:65], v[70:71]
	v_fma_f64 v[64:65], v[64:65], v[68:69], -v[4:5]
	v_add_co_u32 v4, s0, 0x6800, v28
	v_add_co_ci_u32_e64 v5, s0, 0, v29, s0
	v_fma_f64 v[66:67], v[66:67], v[68:69], v[38:39]
	s_clause 0x1
	global_load_dwordx4 v[68:71], v[14:15], off offset:1696
	global_load_dwordx4 v[168:171], v[4:5], off offset:592
	s_waitcnt vmcnt(1)
	v_mul_f64 v[14:15], v[166:167], v[70:71]
	v_mul_f64 v[38:39], v[164:165], v[70:71]
	v_fma_f64 v[164:165], v[164:165], v[68:69], -v[14:15]
	v_fma_f64 v[166:167], v[166:167], v[68:69], v[38:39]
	ds_read_b128 v[68:71], v104 offset:12096
	ds_read_b128 v[172:175], v104 offset:13104
	s_waitcnt vmcnt(0) lgkmcnt(1)
	v_mul_f64 v[14:15], v[70:71], v[170:171]
	v_mul_f64 v[38:39], v[68:69], v[170:171]
	v_fma_f64 v[68:69], v[68:69], v[168:169], -v[14:15]
	v_add_co_u32 v14, s0, 0x4000, v28
	v_add_co_ci_u32_e64 v15, s0, 0, v29, s0
	v_fma_f64 v[70:71], v[70:71], v[168:169], v[38:39]
	s_clause 0x1
	global_load_dwordx4 v[168:171], v[14:15], off offset:1760
	global_load_dwordx4 v[176:179], v[4:5], off offset:1600
	s_waitcnt vmcnt(1)
	v_mul_f64 v[4:5], v[74:75], v[170:171]
	v_mul_f64 v[14:15], v[72:73], v[170:171]
	v_fma_f64 v[72:73], v[72:73], v[168:169], -v[4:5]
	v_add_co_u32 v4, s0, 0x5800, v28
	v_add_co_ci_u32_e64 v5, s0, 0, v29, s0
	v_fma_f64 v[74:75], v[74:75], v[168:169], v[14:15]
	s_clause 0x1
	global_load_dwordx4 v[168:171], v[4:5], off offset:656
	global_load_dwordx4 v[180:183], v[4:5], off offset:1664
	ds_read_b128 v[56:59], v104 offset:8064
	ds_read_b128 v[44:47], v104 offset:9072
	s_waitcnt vmcnt(1) lgkmcnt(1)
	v_mul_f64 v[4:5], v[58:59], v[170:171]
	v_mul_f64 v[14:15], v[56:57], v[170:171]
	v_fma_f64 v[56:57], v[56:57], v[168:169], -v[4:5]
	v_mul_f64 v[4:5], v[174:175], v[178:179]
	v_fma_f64 v[58:59], v[58:59], v[168:169], v[14:15]
	v_mul_f64 v[14:15], v[172:173], v[178:179]
	v_fma_f64 v[168:169], v[172:173], v[176:177], -v[4:5]
	v_mul_f64 v[4:5], v[54:55], v[32:33]
	v_fma_f64 v[170:171], v[174:175], v[176:177], v[14:15]
	v_mul_f64 v[14:15], v[52:53], v[32:33]
	ds_read_b128 v[172:175], v104 offset:14112
	v_fma_f64 v[52:53], v[52:53], v[30:31], -v[4:5]
	s_waitcnt vmcnt(0) lgkmcnt(1)
	v_mul_f64 v[4:5], v[46:47], v[182:183]
	v_fma_f64 v[54:55], v[54:55], v[30:31], v[14:15]
	v_mul_f64 v[14:15], v[44:45], v[182:183]
	v_fma_f64 v[30:31], v[44:45], v[180:181], -v[4:5]
	v_add_co_u32 v4, s0, 0x7000, v28
	v_add_co_ci_u32_e64 v5, s0, 0, v29, s0
	v_fma_f64 v[32:33], v[46:47], v[180:181], v[14:15]
	s_mov_b32 s0, 0xe8584caa
	s_mov_b32 s1, 0xbfebb67a
	global_load_dwordx4 v[44:47], v[4:5], off offset:560
	s_mov_b32 s4, s0
	s_waitcnt vmcnt(0) lgkmcnt(0)
	v_mul_f64 v[4:5], v[174:175], v[46:47]
	v_mul_f64 v[14:15], v[172:173], v[46:47]
	v_fma_f64 v[172:173], v[172:173], v[44:45], -v[4:5]
	v_fma_f64 v[174:175], v[174:175], v[44:45], v[14:15]
	ds_write_b128 v104, v[6:9]
	ds_write_b128 v104, v[48:51] offset:5040
	ds_write_b128 v104, v[34:37] offset:10080
	;; [unrolled: 1-line block ×14, first 2 shown]
	s_waitcnt lgkmcnt(0)
	s_barrier
	buffer_gl0_inv
	ds_read_b128 v[4:7], v104 offset:5040
	ds_read_b128 v[8:11], v104
	ds_read_b128 v[12:15], v104 offset:1008
	ds_read_b128 v[28:31], v104 offset:4032
	;; [unrolled: 1-line block ×4, first 2 shown]
	s_waitcnt lgkmcnt(4)
	v_add_f64 v[40:41], v[8:9], v[4:5]
	v_add_f64 v[42:43], v[10:11], v[6:7]
	s_waitcnt lgkmcnt(1)
	v_add_f64 v[60:61], v[4:5], v[32:33]
	v_add_f64 v[62:63], v[6:7], -v[34:35]
	v_add_f64 v[64:65], v[6:7], v[34:35]
	v_add_f64 v[66:67], v[4:5], -v[32:33]
	v_add_f64 v[4:5], v[40:41], v[32:33]
	v_add_f64 v[6:7], v[42:43], v[34:35]
	ds_read_b128 v[32:35], v104 offset:6048
	ds_read_b128 v[40:43], v104 offset:7056
	s_waitcnt lgkmcnt(1)
	v_add_f64 v[44:45], v[12:13], v[32:33]
	v_add_f64 v[46:47], v[14:15], v[34:35]
	;; [unrolled: 1-line block ×3, first 2 shown]
	v_add_f64 v[70:71], v[34:35], -v[38:39]
	v_add_f64 v[72:73], v[34:35], v[38:39]
	v_add_f64 v[74:75], v[32:33], -v[36:37]
	v_add_f64 v[32:33], v[44:45], v[36:37]
	v_add_f64 v[34:35], v[46:47], v[38:39]
	ds_read_b128 v[36:39], v104 offset:2016
	ds_read_b128 v[44:47], v104 offset:3024
	;; [unrolled: 1-line block ×4, first 2 shown]
	s_waitcnt lgkmcnt(3)
	v_add_f64 v[56:57], v[36:37], v[40:41]
	v_add_f64 v[58:59], v[38:39], v[42:43]
	s_waitcnt lgkmcnt(1)
	v_add_f64 v[76:77], v[40:41], v[48:49]
	v_add_f64 v[78:79], v[42:43], -v[50:51]
	v_add_f64 v[80:81], v[42:43], v[50:51]
	v_add_f64 v[82:83], v[40:41], -v[48:49]
	v_add_f64 v[40:41], v[56:57], v[48:49]
	v_add_f64 v[42:43], v[58:59], v[50:51]
	ds_read_b128 v[48:51], v104 offset:8064
	ds_read_b128 v[56:59], v104 offset:9072
	s_waitcnt lgkmcnt(1)
	v_add_f64 v[84:85], v[44:45], v[48:49]
	v_add_f64 v[86:87], v[46:47], v[50:51]
	;; [unrolled: 1-line block ×4, first 2 shown]
	v_add_f64 v[92:93], v[50:51], -v[54:55]
	v_add_f64 v[94:95], v[48:49], -v[52:53]
	v_add_f64 v[48:49], v[84:85], v[52:53]
	v_add_f64 v[50:51], v[86:87], v[54:55]
	ds_read_b128 v[52:55], v104 offset:14112
	s_waitcnt lgkmcnt(1)
	v_add_f64 v[84:85], v[28:29], v[56:57]
	s_waitcnt lgkmcnt(0)
	s_barrier
	buffer_gl0_inv
	v_add_f64 v[86:87], v[30:31], v[58:59]
	v_add_f64 v[96:97], v[56:57], v[52:53]
	v_add_f64 v[102:103], v[56:57], -v[52:53]
	v_fma_f64 v[56:57], v[60:61], -0.5, v[8:9]
	buffer_load_dword v60, off, s[28:31], 0 offset:340 ; 4-byte Folded Reload
	v_add_f64 v[98:99], v[58:59], v[54:55]
	v_add_f64 v[100:101], v[58:59], -v[54:55]
	v_fma_f64 v[58:59], v[64:65], -0.5, v[10:11]
	v_add_f64 v[52:53], v[84:85], v[52:53]
	v_add_f64 v[54:55], v[86:87], v[54:55]
	v_fma_f64 v[8:9], v[62:63], s[0:1], v[56:57]
	v_fma_f64 v[56:57], v[62:63], s[4:5], v[56:57]
	;; [unrolled: 1-line block ×4, first 2 shown]
	s_waitcnt vmcnt(0)
	ds_write_b128 v60, v[4:7]
	ds_write_b128 v60, v[8:11] offset:16
	ds_write_b128 v60, v[56:59] offset:32
	v_fma_f64 v[6:7], v[68:69], -0.5, v[12:13]
	buffer_load_dword v12, off, s[28:31], 0 offset:364 ; 4-byte Folded Reload
	v_fma_f64 v[10:11], v[72:73], -0.5, v[14:15]
	v_fma_f64 v[4:5], v[70:71], s[0:1], v[6:7]
	v_fma_f64 v[8:9], v[70:71], s[4:5], v[6:7]
	v_fma_f64 v[6:7], v[74:75], s[4:5], v[10:11]
	v_fma_f64 v[10:11], v[74:75], s[0:1], v[10:11]
	s_waitcnt vmcnt(0)
	ds_write_b128 v12, v[32:35]
	ds_write_b128 v12, v[4:7] offset:16
	ds_write_b128 v12, v[8:11] offset:32
	buffer_load_dword v12, off, s[28:31], 0 offset:344 ; 4-byte Folded Reload
	v_fma_f64 v[6:7], v[76:77], -0.5, v[36:37]
	v_fma_f64 v[10:11], v[80:81], -0.5, v[38:39]
	v_fma_f64 v[4:5], v[78:79], s[0:1], v[6:7]
	v_fma_f64 v[8:9], v[78:79], s[4:5], v[6:7]
	v_fma_f64 v[6:7], v[82:83], s[4:5], v[10:11]
	v_fma_f64 v[10:11], v[82:83], s[0:1], v[10:11]
	s_waitcnt vmcnt(0)
	ds_write_b128 v12, v[40:43]
	ds_write_b128 v12, v[4:7] offset:16
	ds_write_b128 v12, v[8:11] offset:32
	buffer_load_dword v12, off, s[28:31], 0 offset:336 ; 4-byte Folded Reload
	v_fma_f64 v[6:7], v[88:89], -0.5, v[44:45]
	;; [unrolled: 11-line block ×3, first 2 shown]
	v_fma_f64 v[10:11], v[98:99], -0.5, v[30:31]
	v_fma_f64 v[4:5], v[100:101], s[0:1], v[6:7]
	v_fma_f64 v[8:9], v[100:101], s[4:5], v[6:7]
	;; [unrolled: 1-line block ×4, first 2 shown]
	s_waitcnt vmcnt(0)
	ds_write_b128 v12, v[52:55]
	ds_write_b128 v12, v[4:7] offset:16
	ds_write_b128 v12, v[8:11] offset:32
	s_waitcnt lgkmcnt(0)
	s_barrier
	buffer_gl0_inv
	ds_read_b128 v[4:7], v104 offset:5040
	ds_read_b128 v[8:11], v104 offset:4032
	s_clause 0x3
	buffer_load_dword v28, off, s[28:31], 0 offset:300
	buffer_load_dword v29, off, s[28:31], 0 offset:304
	;; [unrolled: 1-line block ×4, first 2 shown]
	s_waitcnt vmcnt(0) lgkmcnt(1)
	v_mul_f64 v[12:13], v[30:31], v[6:7]
	v_fma_f64 v[32:33], v[28:29], v[4:5], v[12:13]
	v_mul_f64 v[4:5], v[30:31], v[4:5]
	v_fma_f64 v[34:35], v[28:29], v[6:7], -v[4:5]
	ds_read_b128 v[4:7], v104 offset:10080
	ds_read_b128 v[12:15], v104 offset:11088
	s_clause 0x3
	buffer_load_dword v38, off, s[28:31], 0 offset:400
	buffer_load_dword v39, off, s[28:31], 0 offset:404
	;; [unrolled: 1-line block ×4, first 2 shown]
	s_waitcnt vmcnt(0) lgkmcnt(1)
	v_mul_f64 v[28:29], v[40:41], v[6:7]
	v_fma_f64 v[36:37], v[38:39], v[4:5], v[28:29]
	v_mul_f64 v[4:5], v[40:41], v[4:5]
	v_fma_f64 v[38:39], v[38:39], v[6:7], -v[4:5]
	ds_read_b128 v[4:7], v104 offset:6048
	ds_read_b128 v[28:31], v104 offset:7056
	s_clause 0x3
	buffer_load_dword v46, off, s[28:31], 0 offset:384
	buffer_load_dword v47, off, s[28:31], 0 offset:388
	;; [unrolled: 1-line block ×4, first 2 shown]
	s_waitcnt vmcnt(0) lgkmcnt(1)
	v_mul_f64 v[40:41], v[48:49], v[6:7]
	v_fma_f64 v[44:45], v[46:47], v[4:5], v[40:41]
	s_clause 0x3
	buffer_load_dword v40, off, s[28:31], 0 offset:416
	buffer_load_dword v41, off, s[28:31], 0 offset:420
	;; [unrolled: 1-line block ×4, first 2 shown]
	v_mul_f64 v[4:5], v[48:49], v[4:5]
	v_fma_f64 v[46:47], v[46:47], v[6:7], -v[4:5]
	s_waitcnt vmcnt(0)
	v_mul_f64 v[4:5], v[42:43], v[14:15]
	v_fma_f64 v[48:49], v[40:41], v[12:13], v[4:5]
	v_mul_f64 v[4:5], v[42:43], v[12:13]
	v_fma_f64 v[50:51], v[40:41], v[14:15], -v[4:5]
	s_clause 0x3
	buffer_load_dword v12, off, s[28:31], 0 offset:460
	buffer_load_dword v13, off, s[28:31], 0 offset:464
	;; [unrolled: 1-line block ×4, first 2 shown]
	s_waitcnt vmcnt(0) lgkmcnt(0)
	v_mul_f64 v[4:5], v[14:15], v[30:31]
	v_fma_f64 v[52:53], v[12:13], v[28:29], v[4:5]
	v_mul_f64 v[4:5], v[14:15], v[28:29]
	v_fma_f64 v[54:55], v[12:13], v[30:31], -v[4:5]
	ds_read_b128 v[4:7], v104 offset:12096
	ds_read_b128 v[12:15], v104 offset:13104
	s_clause 0x3
	buffer_load_dword v40, off, s[28:31], 0 offset:440
	buffer_load_dword v41, off, s[28:31], 0 offset:444
	;; [unrolled: 1-line block ×4, first 2 shown]
	s_waitcnt vmcnt(0) lgkmcnt(1)
	v_mul_f64 v[28:29], v[42:43], v[6:7]
	v_fma_f64 v[56:57], v[40:41], v[4:5], v[28:29]
	v_mul_f64 v[4:5], v[42:43], v[4:5]
	v_fma_f64 v[58:59], v[40:41], v[6:7], -v[4:5]
	ds_read_b128 v[4:7], v104 offset:8064
	ds_read_b128 v[28:31], v104 offset:9072
	s_clause 0x3
	buffer_load_dword v62, off, s[28:31], 0 offset:500
	buffer_load_dword v63, off, s[28:31], 0 offset:504
	buffer_load_dword v64, off, s[28:31], 0 offset:508
	buffer_load_dword v65, off, s[28:31], 0 offset:512
	s_waitcnt vmcnt(0) lgkmcnt(1)
	v_mul_f64 v[40:41], v[64:65], v[6:7]
	v_fma_f64 v[60:61], v[62:63], v[4:5], v[40:41]
	s_clause 0x3
	buffer_load_dword v40, off, s[28:31], 0 offset:480
	buffer_load_dword v41, off, s[28:31], 0 offset:484
	;; [unrolled: 1-line block ×4, first 2 shown]
	v_mul_f64 v[4:5], v[64:65], v[4:5]
	v_fma_f64 v[62:63], v[62:63], v[6:7], -v[4:5]
	s_waitcnt vmcnt(0)
	v_mul_f64 v[4:5], v[42:43], v[14:15]
	v_fma_f64 v[64:65], v[40:41], v[12:13], v[4:5]
	v_mul_f64 v[4:5], v[42:43], v[12:13]
	v_fma_f64 v[66:67], v[40:41], v[14:15], -v[4:5]
	s_clause 0x3
	buffer_load_dword v12, off, s[28:31], 0 offset:544
	buffer_load_dword v13, off, s[28:31], 0 offset:548
	buffer_load_dword v14, off, s[28:31], 0 offset:552
	buffer_load_dword v15, off, s[28:31], 0 offset:556
	s_waitcnt vmcnt(0) lgkmcnt(0)
	v_mul_f64 v[4:5], v[14:15], v[30:31]
	v_fma_f64 v[68:69], v[12:13], v[28:29], v[4:5]
	v_mul_f64 v[4:5], v[14:15], v[28:29]
	v_fma_f64 v[70:71], v[12:13], v[30:31], -v[4:5]
	ds_read_b128 v[4:7], v104 offset:14112
	s_clause 0x3
	buffer_load_dword v28, off, s[28:31], 0 offset:528
	buffer_load_dword v29, off, s[28:31], 0 offset:532
	;; [unrolled: 1-line block ×4, first 2 shown]
	s_waitcnt vmcnt(0) lgkmcnt(0)
	v_mul_f64 v[12:13], v[30:31], v[6:7]
	v_fma_f64 v[72:73], v[28:29], v[4:5], v[12:13]
	v_mul_f64 v[4:5], v[30:31], v[4:5]
	v_fma_f64 v[74:75], v[28:29], v[6:7], -v[4:5]
	v_add_f64 v[28:29], v[32:33], v[36:37]
	ds_read_b128 v[4:7], v104
	ds_read_b128 v[12:15], v104 offset:1008
	s_waitcnt lgkmcnt(1)
	v_fma_f64 v[30:31], v[28:29], -0.5, v[4:5]
	v_add_f64 v[28:29], v[34:35], v[38:39]
	v_add_f64 v[4:5], v[4:5], v[32:33]
	v_fma_f64 v[40:41], v[28:29], -0.5, v[6:7]
	v_add_f64 v[6:7], v[6:7], v[34:35]
	v_add_f64 v[34:35], v[34:35], -v[38:39]
	v_add_f64 v[4:5], v[4:5], v[36:37]
	v_add_f64 v[36:37], v[32:33], -v[36:37]
	v_add_f64 v[6:7], v[6:7], v[38:39]
	v_fma_f64 v[28:29], v[34:35], s[0:1], v[30:31]
	v_fma_f64 v[32:33], v[34:35], s[4:5], v[30:31]
	;; [unrolled: 1-line block ×4, first 2 shown]
	ds_read_b128 v[36:39], v104 offset:2016
	ds_read_b128 v[40:43], v104 offset:3024
	s_waitcnt lgkmcnt(0)
	s_barrier
	buffer_gl0_inv
	buffer_load_dword v76, off, s[28:31], 0 offset:580 ; 4-byte Folded Reload
	s_waitcnt vmcnt(0)
	ds_write_b128 v76, v[4:7]
	ds_write_b128 v76, v[28:31] offset:48
	ds_write_b128 v76, v[32:35] offset:96
	v_add_f64 v[4:5], v[44:45], v[48:49]
	v_add_f64 v[32:33], v[44:45], -v[48:49]
	v_fma_f64 v[28:29], v[4:5], -0.5, v[12:13]
	v_add_f64 v[4:5], v[46:47], v[50:51]
	v_add_f64 v[12:13], v[12:13], v[44:45]
	v_fma_f64 v[30:31], v[4:5], -0.5, v[14:15]
	v_add_f64 v[4:5], v[14:15], v[46:47]
	v_add_f64 v[14:15], v[46:47], -v[50:51]
	v_add_f64 v[6:7], v[4:5], v[50:51]
	v_add_f64 v[4:5], v[12:13], v[48:49]
	v_fma_f64 v[12:13], v[14:15], s[0:1], v[28:29]
	v_fma_f64 v[28:29], v[14:15], s[4:5], v[28:29]
	;; [unrolled: 1-line block ×4, first 2 shown]
	buffer_load_dword v32, off, s[28:31], 0 offset:560 ; 4-byte Folded Reload
	s_waitcnt vmcnt(0)
	ds_write_b128 v32, v[4:7]
	ds_write_b128 v32, v[12:15] offset:48
	ds_write_b128 v32, v[28:31] offset:96
	v_add_f64 v[4:5], v[52:53], v[56:57]
	v_add_f64 v[12:13], v[36:37], v[52:53]
	v_add_f64 v[28:29], v[54:55], -v[58:59]
	v_add_f64 v[32:33], v[52:53], -v[56:57]
	v_fma_f64 v[14:15], v[4:5], -0.5, v[36:37]
	v_add_f64 v[4:5], v[54:55], v[58:59]
	v_add_f64 v[36:37], v[70:71], -v[74:75]
	v_fma_f64 v[30:31], v[4:5], -0.5, v[38:39]
	v_add_f64 v[4:5], v[38:39], v[54:55]
	v_add_f64 v[6:7], v[4:5], v[58:59]
	;; [unrolled: 1-line block ×3, first 2 shown]
	v_fma_f64 v[12:13], v[28:29], s[0:1], v[14:15]
	v_fma_f64 v[28:29], v[28:29], s[4:5], v[14:15]
	;; [unrolled: 1-line block ×4, first 2 shown]
	buffer_load_dword v32, off, s[28:31], 0 offset:476 ; 4-byte Folded Reload
	s_waitcnt vmcnt(0)
	ds_write_b128 v32, v[4:7]
	ds_write_b128 v32, v[12:15] offset:48
	ds_write_b128 v32, v[28:31] offset:96
	v_add_f64 v[4:5], v[60:61], v[64:65]
	v_add_f64 v[12:13], v[40:41], v[60:61]
	v_add_f64 v[28:29], v[62:63], -v[66:67]
	v_add_f64 v[32:33], v[60:61], -v[64:65]
	v_fma_f64 v[14:15], v[4:5], -0.5, v[40:41]
	v_add_f64 v[4:5], v[62:63], v[66:67]
	v_add_f64 v[40:41], v[68:69], -v[72:73]
	v_fma_f64 v[30:31], v[4:5], -0.5, v[42:43]
	v_add_f64 v[4:5], v[42:43], v[62:63]
	v_add_f64 v[6:7], v[4:5], v[66:67]
	;; [unrolled: 1-line block ×3, first 2 shown]
	v_fma_f64 v[12:13], v[28:29], s[0:1], v[14:15]
	v_fma_f64 v[28:29], v[28:29], s[4:5], v[14:15]
	;; [unrolled: 1-line block ×4, first 2 shown]
	v_add_f64 v[32:33], v[68:69], v[72:73]
	v_fma_f64 v[34:35], v[32:33], -0.5, v[8:9]
	v_add_f64 v[32:33], v[70:71], v[74:75]
	v_add_f64 v[8:9], v[8:9], v[68:69]
	v_fma_f64 v[38:39], v[32:33], -0.5, v[10:11]
	v_fma_f64 v[32:33], v[36:37], s[0:1], v[34:35]
	v_fma_f64 v[36:37], v[36:37], s[4:5], v[34:35]
	v_add_f64 v[10:11], v[10:11], v[70:71]
	v_add_f64 v[8:9], v[8:9], v[72:73]
	v_fma_f64 v[34:35], v[40:41], s[4:5], v[38:39]
	v_fma_f64 v[38:39], v[40:41], s[0:1], v[38:39]
	buffer_load_dword v40, off, s[28:31], 0 offset:436 ; 4-byte Folded Reload
	v_add_f64 v[10:11], v[10:11], v[74:75]
	s_waitcnt vmcnt(0)
	ds_write_b128 v40, v[4:7]
	ds_write_b128 v40, v[12:15] offset:48
	ds_write_b128 v40, v[28:31] offset:96
	buffer_load_dword v4, off, s[28:31], 0 offset:432 ; 4-byte Folded Reload
	s_waitcnt vmcnt(0)
	ds_write_b128 v4, v[8:11]
	ds_write_b128 v4, v[32:35] offset:48
	ds_write_b128 v4, v[36:39] offset:96
	s_waitcnt lgkmcnt(0)
	s_barrier
	buffer_gl0_inv
	ds_read_b128 v[4:7], v104 offset:5040
	ds_read_b128 v[8:11], v104 offset:4032
	s_clause 0x3
	buffer_load_dword v42, off, s[28:31], 0 offset:316
	buffer_load_dword v43, off, s[28:31], 0 offset:320
	;; [unrolled: 1-line block ×4, first 2 shown]
	ds_read_b128 v[12:15], v104 offset:10080
	ds_read_b128 v[28:31], v104 offset:11088
	s_clause 0x3
	buffer_load_dword v46, off, s[28:31], 0 offset:564
	buffer_load_dword v47, off, s[28:31], 0 offset:568
	;; [unrolled: 1-line block ×4, first 2 shown]
	s_waitcnt vmcnt(4) lgkmcnt(3)
	v_mul_f64 v[32:33], v[44:45], v[6:7]
	v_mul_f64 v[34:35], v[44:45], v[4:5]
	s_waitcnt vmcnt(0) lgkmcnt(1)
	v_mul_f64 v[36:37], v[48:49], v[14:15]
	v_mul_f64 v[38:39], v[48:49], v[12:13]
	v_fma_f64 v[40:41], v[42:43], v[4:5], v[32:33]
	v_fma_f64 v[42:43], v[42:43], v[6:7], -v[34:35]
	ds_read_b128 v[4:7], v104 offset:6048
	ds_read_b128 v[32:35], v104 offset:7056
	v_fma_f64 v[36:37], v[46:47], v[12:13], v[36:37]
	v_fma_f64 v[38:39], v[46:47], v[14:15], -v[38:39]
	s_waitcnt lgkmcnt(2)
	v_mul_f64 v[14:15], v[186:187], v[30:31]
	v_mul_f64 v[46:47], v[186:187], v[28:29]
	s_waitcnt lgkmcnt(1)
	v_mul_f64 v[44:45], v[190:191], v[6:7]
	v_mul_f64 v[12:13], v[190:191], v[4:5]
	;; [unrolled: 3-line block ×3, first 2 shown]
	v_add_f64 v[74:75], v[42:43], v[38:39]
	v_fma_f64 v[54:55], v[184:185], v[28:29], v[14:15]
	v_fma_f64 v[46:47], v[184:185], v[30:31], -v[46:47]
	v_fma_f64 v[44:45], v[188:189], v[4:5], v[44:45]
	v_fma_f64 v[50:51], v[188:189], v[6:7], -v[12:13]
	ds_read_b128 v[4:7], v104 offset:12096
	ds_read_b128 v[12:15], v104 offset:13104
	v_fma_f64 v[48:49], v[196:197], v[32:33], v[48:49]
	v_fma_f64 v[52:53], v[196:197], v[34:35], -v[52:53]
	ds_read_b128 v[28:31], v104 offset:8064
	ds_read_b128 v[32:35], v104 offset:9072
	s_waitcnt lgkmcnt(3)
	v_mul_f64 v[56:57], v[194:195], v[6:7]
	v_mul_f64 v[58:59], v[194:195], v[4:5]
	s_waitcnt lgkmcnt(2)
	v_mul_f64 v[64:65], v[202:203], v[14:15]
	s_waitcnt lgkmcnt(1)
	v_mul_f64 v[60:61], v[206:207], v[30:31]
	v_mul_f64 v[62:63], v[206:207], v[28:29]
	s_waitcnt lgkmcnt(0)
	v_mul_f64 v[66:67], v[214:215], v[32:33]
	v_fma_f64 v[56:57], v[192:193], v[4:5], v[56:57]
	v_fma_f64 v[58:59], v[192:193], v[6:7], -v[58:59]
	ds_read_b128 v[4:7], v104 offset:14112
	v_fma_f64 v[60:61], v[204:205], v[28:29], v[60:61]
	v_fma_f64 v[62:63], v[204:205], v[30:31], -v[62:63]
	v_mul_f64 v[28:29], v[202:203], v[12:13]
	v_mul_f64 v[30:31], v[214:215], v[34:35]
	v_fma_f64 v[64:65], v[200:201], v[12:13], v[64:65]
	v_fma_f64 v[34:35], v[212:213], v[34:35], -v[66:67]
	v_add_f64 v[66:67], v[40:41], v[36:37]
	s_waitcnt lgkmcnt(0)
	v_mul_f64 v[68:69], v[210:211], v[6:7]
	v_mul_f64 v[72:73], v[210:211], v[4:5]
	v_add_f64 v[84:85], v[48:49], v[56:57]
	v_fma_f64 v[70:71], v[200:201], v[14:15], -v[28:29]
	v_fma_f64 v[32:33], v[212:213], v[32:33], v[30:31]
	ds_read_b128 v[12:15], v104
	ds_read_b128 v[28:31], v104 offset:1008
	v_add_f64 v[106:107], v[10:11], v[34:35]
	v_fma_f64 v[68:69], v[208:209], v[4:5], v[68:69]
	v_add_f64 v[4:5], v[44:45], v[54:55]
	v_fma_f64 v[72:73], v[208:209], v[6:7], -v[72:73]
	v_add_f64 v[6:7], v[50:51], v[46:47]
	s_waitcnt lgkmcnt(1)
	v_add_f64 v[76:77], v[12:13], v[40:41]
	s_waitcnt lgkmcnt(0)
	v_add_f64 v[80:81], v[28:29], v[44:45]
	v_add_f64 v[78:79], v[14:15], v[42:43]
	v_fma_f64 v[66:67], v[66:67], -0.5, v[12:13]
	v_fma_f64 v[74:75], v[74:75], -0.5, v[14:15]
	v_add_f64 v[42:43], v[42:43], -v[38:39]
	v_add_f64 v[82:83], v[30:31], v[50:51]
	v_add_f64 v[108:109], v[8:9], v[32:33]
	v_add_f64 v[50:51], v[50:51], -v[46:47]
	v_fma_f64 v[86:87], v[4:5], -0.5, v[28:29]
	v_add_f64 v[28:29], v[52:53], v[58:59]
	v_fma_f64 v[88:89], v[6:7], -0.5, v[30:31]
	ds_read_b128 v[4:7], v104 offset:2016
	ds_read_b128 v[12:15], v104 offset:3024
	s_waitcnt lgkmcnt(0)
	s_barrier
	buffer_gl0_inv
	v_fma_f64 v[84:85], v[84:85], -0.5, v[4:5]
	v_fma_f64 v[90:91], v[28:29], -0.5, v[6:7]
	v_add_f64 v[28:29], v[4:5], v[48:49]
	v_add_f64 v[4:5], v[60:61], v[64:65]
	;; [unrolled: 1-line block ×5, first 2 shown]
	v_add_f64 v[78:79], v[52:53], -v[58:59]
	v_add_f64 v[98:99], v[12:13], v[60:61]
	v_fma_f64 v[92:93], v[4:5], -0.5, v[12:13]
	v_add_f64 v[4:5], v[62:63], v[70:71]
	v_add_f64 v[12:13], v[28:29], v[56:57]
	v_add_f64 v[62:63], v[62:63], -v[70:71]
	v_fma_f64 v[52:53], v[78:79], s[0:1], v[84:85]
	v_add_f64 v[28:29], v[98:99], v[64:65]
	v_fma_f64 v[94:95], v[4:5], -0.5, v[14:15]
	v_add_f64 v[4:5], v[32:33], v[68:69]
	v_add_f64 v[14:15], v[30:31], v[58:59]
	v_add_f64 v[58:59], v[48:49], -v[56:57]
	v_fma_f64 v[48:49], v[50:51], s[4:5], v[86:87]
	v_fma_f64 v[56:57], v[78:79], s[4:5], v[84:85]
	v_add_f64 v[30:31], v[96:97], v[70:71]
	v_add_f64 v[70:71], v[60:61], -v[64:65]
	v_fma_f64 v[60:61], v[62:63], s[0:1], v[92:93]
	v_fma_f64 v[64:65], v[62:63], s[4:5], v[92:93]
	v_fma_f64 v[100:101], v[4:5], -0.5, v[8:9]
	v_add_f64 v[4:5], v[34:35], v[72:73]
	v_add_f64 v[8:9], v[80:81], v[54:55]
	v_add_f64 v[54:55], v[44:45], -v[54:55]
	v_fma_f64 v[44:45], v[50:51], s[0:1], v[86:87]
	v_add_f64 v[80:81], v[34:35], -v[72:73]
	v_fma_f64 v[62:63], v[70:71], s[4:5], v[94:95]
	v_add_f64 v[34:35], v[106:107], v[72:73]
	v_fma_f64 v[102:103], v[4:5], -0.5, v[10:11]
	v_add_f64 v[4:5], v[76:77], v[36:37]
	v_add_f64 v[76:77], v[40:41], -v[36:37]
	v_fma_f64 v[36:37], v[42:43], s[0:1], v[66:67]
	v_fma_f64 v[40:41], v[42:43], s[4:5], v[66:67]
	v_add_f64 v[10:11], v[82:83], v[46:47]
	v_fma_f64 v[46:47], v[54:55], s[4:5], v[88:89]
	v_fma_f64 v[50:51], v[54:55], s[0:1], v[88:89]
	;; [unrolled: 1-line block ×5, first 2 shown]
	v_add_f64 v[82:83], v[32:33], -v[68:69]
	v_add_f64 v[32:33], v[108:109], v[68:69]
	v_fma_f64 v[68:69], v[80:81], s[0:1], v[100:101]
	v_fma_f64 v[72:73], v[80:81], s[4:5], v[100:101]
	;; [unrolled: 1-line block ×4, first 2 shown]
	buffer_load_dword v76, off, s[28:31], 0 offset:456 ; 4-byte Folded Reload
	s_waitcnt vmcnt(0)
	ds_write_b128 v76, v[4:7]
	ds_write_b128 v76, v[36:39] offset:144
	ds_write_b128 v76, v[40:43] offset:288
	buffer_load_dword v4, off, s[28:31], 0 offset:496 ; 4-byte Folded Reload
	v_fma_f64 v[70:71], v[82:83], s[4:5], v[102:103]
	v_fma_f64 v[74:75], v[82:83], s[0:1], v[102:103]
	s_mov_b32 s4, 0x134454ff
	s_mov_b32 s5, 0xbfee6f0e
	;; [unrolled: 1-line block ×6, first 2 shown]
	s_waitcnt vmcnt(0)
	ds_write_b128 v4, v[8:11]
	ds_write_b128 v4, v[44:47] offset:144
	ds_write_b128 v4, v[48:51] offset:288
	buffer_load_dword v4, off, s[28:31], 0 offset:516 ; 4-byte Folded Reload
	s_waitcnt vmcnt(0)
	ds_write_b128 v4, v[12:15]
	ds_write_b128 v4, v[52:55] offset:144
	ds_write_b128 v4, v[56:59] offset:288
	buffer_load_dword v4, off, s[28:31], 0 offset:520 ; 4-byte Folded Reload
	;; [unrolled: 5-line block ×3, first 2 shown]
	s_waitcnt vmcnt(0)
	ds_write_b128 v4, v[32:35]
	ds_write_b128 v4, v[68:71] offset:144
	ds_write_b128 v4, v[72:75] offset:288
	s_waitcnt lgkmcnt(0)
	s_barrier
	buffer_gl0_inv
	ds_read_b128 v[4:7], v104 offset:3024
	ds_read_b128 v[8:11], v104 offset:6048
	;; [unrolled: 1-line block ×6, first 2 shown]
	s_clause 0x3
	buffer_load_dword v86, off, s[28:31], 0 offset:348
	buffer_load_dword v87, off, s[28:31], 0 offset:352
	buffer_load_dword v88, off, s[28:31], 0 offset:356
	buffer_load_dword v89, off, s[28:31], 0 offset:360
	ds_read_b128 v[40:43], v104 offset:7056
	ds_read_b128 v[44:47], v104 offset:10080
	s_clause 0x3
	buffer_load_dword v92, off, s[28:31], 0 offset:368
	buffer_load_dword v93, off, s[28:31], 0 offset:372
	;; [unrolled: 1-line block ×4, first 2 shown]
	ds_read_b128 v[48:51], v104 offset:13104
	ds_read_b128 v[52:55], v104 offset:5040
	;; [unrolled: 1-line block ×5, first 2 shown]
	s_clause 0x7
	buffer_load_dword v108, off, s[28:31], 0 offset:584
	buffer_load_dword v109, off, s[28:31], 0 offset:588
	;; [unrolled: 1-line block ×8, first 2 shown]
	s_waitcnt lgkmcnt(10)
	v_mul_f64 v[76:77], v[150:151], v[14:15]
	v_mul_f64 v[78:79], v[150:151], v[12:13]
	s_waitcnt lgkmcnt(9)
	v_mul_f64 v[80:81], v[146:147], v[28:29]
	v_mul_f64 v[82:83], v[146:147], v[30:31]
	s_waitcnt lgkmcnt(8)
	v_mul_f64 v[84:85], v[154:155], v[34:35]
	s_waitcnt lgkmcnt(3)
	;; [unrolled: 2-line block ×5, first 2 shown]
	v_mul_f64 v[106:107], v[138:139], v[64:65]
	v_fma_f64 v[12:13], v[148:149], v[12:13], v[76:77]
	v_fma_f64 v[14:15], v[148:149], v[14:15], -v[78:79]
	v_mul_f64 v[76:77], v[134:135], v[52:53]
	v_mul_f64 v[78:79], v[130:131], v[58:59]
	v_fma_f64 v[30:31], v[144:145], v[30:31], -v[80:81]
	v_fma_f64 v[28:29], v[144:145], v[28:29], v[82:83]
	v_mul_f64 v[80:81], v[142:143], v[60:61]
	v_mul_f64 v[82:83], v[138:139], v[66:67]
	v_fma_f64 v[52:53], v[132:133], v[52:53], v[98:99]
	v_fma_f64 v[58:59], v[128:129], v[58:59], -v[100:101]
	v_fma_f64 v[60:61], v[140:141], v[60:61], v[102:103]
	v_fma_f64 v[66:67], v[136:137], v[66:67], -v[106:107]
	v_fma_f64 v[54:55], v[132:133], v[54:55], -v[76:77]
	v_fma_f64 v[56:57], v[128:129], v[56:57], v[78:79]
	v_fma_f64 v[62:63], v[140:141], v[62:63], -v[80:81]
	v_fma_f64 v[64:65], v[136:137], v[64:65], v[82:83]
	v_add_f64 v[82:83], v[28:29], -v[12:13]
	v_add_f64 v[134:135], v[52:53], -v[56:57]
	s_waitcnt vmcnt(12)
	v_mul_f64 v[68:69], v[88:89], v[6:7]
	v_mul_f64 v[70:71], v[88:89], v[4:5]
	s_waitcnt vmcnt(8)
	v_mul_f64 v[72:73], v[94:95], v[10:11]
	v_mul_f64 v[74:75], v[94:95], v[8:9]
	s_waitcnt vmcnt(4)
	v_mul_f64 v[88:89], v[110:111], v[40:41]
	s_waitcnt vmcnt(0)
	v_mul_f64 v[90:91], v[116:117], v[46:47]
	v_fma_f64 v[68:69], v[86:87], v[4:5], v[68:69]
	v_fma_f64 v[70:71], v[86:87], v[6:7], -v[70:71]
	v_mul_f64 v[86:87], v[110:111], v[42:43]
	s_clause 0x3
	buffer_load_dword v110, off, s[28:31], 0 offset:604
	buffer_load_dword v111, off, s[28:31], 0 offset:608
	;; [unrolled: 1-line block ×4, first 2 shown]
	v_mul_f64 v[4:5], v[154:155], v[32:33]
	v_fma_f64 v[72:73], v[92:93], v[8:9], v[72:73]
	v_fma_f64 v[74:75], v[92:93], v[10:11], -v[74:75]
	v_mul_f64 v[92:93], v[116:117], v[44:45]
	v_fma_f64 v[32:33], v[152:153], v[32:33], v[84:85]
	v_fma_f64 v[42:43], v[108:109], v[42:43], -v[88:89]
	v_fma_f64 v[44:45], v[114:115], v[44:45], v[90:91]
	ds_read_b128 v[8:11], v104 offset:1008
	v_add_f64 v[84:85], v[68:69], v[28:29]
	v_add_f64 v[90:91], v[70:71], v[30:31]
	v_fma_f64 v[40:41], v[108:109], v[40:41], v[86:87]
	v_add_f64 v[108:109], v[30:31], -v[14:15]
	v_fma_f64 v[34:35], v[152:153], v[34:35], -v[4:5]
	ds_read_b128 v[4:7], v104
	v_add_f64 v[78:79], v[72:73], v[12:13]
	v_fma_f64 v[46:47], v[114:115], v[46:47], -v[92:93]
	v_add_f64 v[80:81], v[68:69], -v[72:73]
	v_add_f64 v[86:87], v[72:73], -v[68:69]
	v_add_f64 v[88:89], v[74:75], v[14:15]
	v_add_f64 v[92:93], v[12:13], -v[28:29]
	v_add_f64 v[106:107], v[70:71], -v[74:75]
	s_waitcnt lgkmcnt(1)
	v_add_f64 v[114:115], v[8:9], v[32:33]
	s_waitcnt vmcnt(0) lgkmcnt(0)
	s_barrier
	buffer_gl0_inv
	v_add_f64 v[116:117], v[32:33], -v[40:41]
	v_add_f64 v[76:77], v[4:5], v[68:69]
	v_add_f64 v[126:127], v[34:35], -v[42:43]
	v_add_f64 v[120:121], v[40:41], -v[32:33]
	v_add_f64 v[124:125], v[10:11], v[34:35]
	v_add_f64 v[100:101], v[42:43], v[46:47]
	v_add_f64 v[130:131], v[42:43], -v[34:35]
	v_fma_f64 v[78:79], v[78:79], -0.5, v[4:5]
	v_fma_f64 v[4:5], v[84:85], -0.5, v[4:5]
	;; [unrolled: 1-line block ×3, first 2 shown]
	v_add_f64 v[88:89], v[64:65], -v[60:61]
	v_add_f64 v[80:81], v[80:81], v[82:83]
	v_add_f64 v[82:83], v[36:37], v[52:53]
	;; [unrolled: 1-line block ×6, first 2 shown]
	v_add_f64 v[68:69], v[68:69], -v[28:29]
	v_add_f64 v[76:77], v[76:77], v[72:73]
	v_add_f64 v[72:73], v[72:73], -v[12:13]
	v_add_f64 v[88:89], v[134:135], v[88:89]
	;; [unrolled: 2-line block ×3, first 2 shown]
	v_mul_f64 v[94:95], v[112:113], v[50:51]
	v_mul_f64 v[96:97], v[112:113], v[48:49]
	v_add_f64 v[112:113], v[14:15], -v[30:31]
	v_fma_f64 v[48:49], v[110:111], v[48:49], v[94:95]
	v_fma_f64 v[50:51], v[110:111], v[50:51], -v[96:97]
	v_add_f64 v[94:95], v[6:7], v[70:71]
	v_add_f64 v[96:97], v[40:41], v[44:45]
	v_add_f64 v[110:111], v[74:75], -v[70:71]
	v_fma_f64 v[6:7], v[90:91], -0.5, v[6:7]
	v_add_f64 v[90:91], v[56:57], -v[52:53]
	v_add_f64 v[70:71], v[70:71], -v[30:31]
	v_add_f64 v[98:99], v[32:33], v[48:49]
	v_add_f64 v[102:103], v[34:35], v[50:51]
	v_add_f64 v[128:129], v[50:51], -v[46:47]
	v_add_f64 v[118:119], v[48:49], -v[44:45]
	;; [unrolled: 1-line block ×4, first 2 shown]
	v_fma_f64 v[96:97], v[96:97], -0.5, v[8:9]
	v_add_f64 v[110:111], v[110:111], v[112:113]
	v_add_f64 v[112:113], v[58:59], v[62:63]
	v_fma_f64 v[76:77], v[70:71], s[14:15], v[78:79]
	v_add_f64 v[34:35], v[34:35], -v[50:51]
	v_add_f64 v[32:33], v[32:33], -v[48:49]
	v_fma_f64 v[8:9], v[98:99], -0.5, v[8:9]
	v_fma_f64 v[98:99], v[100:101], -0.5, v[10:11]
	;; [unrolled: 1-line block ×3, first 2 shown]
	v_add_f64 v[100:101], v[60:61], -v[64:65]
	v_add_f64 v[102:103], v[74:75], -v[14:15]
	v_add_f64 v[74:75], v[94:95], v[74:75]
	v_add_f64 v[94:95], v[52:53], v[64:65]
	;; [unrolled: 1-line block ×5, first 2 shown]
	v_add_f64 v[118:119], v[54:55], -v[58:59]
	v_add_f64 v[120:121], v[120:121], v[122:123]
	v_add_f64 v[122:123], v[66:67], -v[62:63]
	v_add_f64 v[130:131], v[130:131], v[132:133]
	v_add_f64 v[132:133], v[58:59], -v[54:55]
	v_add_f64 v[54:55], v[54:55], -v[66:67]
	v_add_f64 v[52:53], v[52:53], -v[64:65]
	v_fma_f64 v[136:137], v[32:33], s[14:15], v[98:99]
	v_fma_f64 v[98:99], v[32:33], s[4:5], v[98:99]
	v_add_f64 v[90:91], v[90:91], v[100:101]
	v_add_f64 v[100:101], v[42:43], -v[46:47]
	v_add_f64 v[42:43], v[124:125], v[42:43]
	v_add_f64 v[124:125], v[40:41], -v[44:45]
	v_add_f64 v[40:41], v[114:115], v[40:41]
	v_add_f64 v[114:115], v[58:59], -v[62:63]
	v_add_f64 v[58:59], v[108:109], v[58:59]
	v_add_f64 v[108:109], v[56:57], -v[60:61]
	v_add_f64 v[56:57], v[82:83], v[56:57]
	v_fma_f64 v[82:83], v[92:93], -0.5, v[36:37]
	v_fma_f64 v[36:37], v[94:95], -0.5, v[36:37]
	;; [unrolled: 1-line block ×4, first 2 shown]
	v_add_f64 v[14:15], v[74:75], v[14:15]
	v_fma_f64 v[74:75], v[70:71], s[4:5], v[78:79]
	v_fma_f64 v[78:79], v[102:103], s[14:15], v[4:5]
	v_add_f64 v[94:95], v[118:119], v[122:123]
	v_add_f64 v[112:113], v[132:133], v[134:135]
	v_fma_f64 v[118:119], v[102:103], s[4:5], v[4:5]
	v_fma_f64 v[128:129], v[72:73], s[4:5], v[6:7]
	;; [unrolled: 1-line block ×3, first 2 shown]
	v_add_f64 v[4:5], v[12:13], v[28:29]
	v_fma_f64 v[122:123], v[68:69], s[14:15], v[84:85]
	v_fma_f64 v[84:85], v[68:69], s[4:5], v[84:85]
	v_add_f64 v[42:43], v[42:43], v[46:47]
	v_fma_f64 v[46:47], v[100:101], s[14:15], v[8:9]
	v_add_f64 v[40:41], v[40:41], v[44:45]
	;; [unrolled: 2-line block ×4, first 2 shown]
	v_fma_f64 v[60:61], v[54:55], s[4:5], v[82:83]
	v_fma_f64 v[82:83], v[54:55], s[14:15], v[82:83]
	;; [unrolled: 1-line block ×4, first 2 shown]
	v_add_f64 v[6:7], v[14:15], v[30:31]
	v_fma_f64 v[28:29], v[108:109], s[4:5], v[38:39]
	v_fma_f64 v[30:31], v[108:109], s[14:15], v[38:39]
	v_fma_f64 v[38:39], v[102:103], s[0:1], v[74:75]
	v_fma_f64 v[74:75], v[102:103], s[12:13], v[76:77]
	v_fma_f64 v[76:77], v[70:71], s[0:1], v[78:79]
	v_fma_f64 v[138:139], v[124:125], s[4:5], v[10:11]
	v_fma_f64 v[134:135], v[100:101], s[4:5], v[8:9]
	v_fma_f64 v[140:141], v[124:125], s[14:15], v[10:11]
	v_fma_f64 v[142:143], v[52:53], s[14:15], v[92:93]
	v_fma_f64 v[92:93], v[52:53], s[4:5], v[92:93]
	v_fma_f64 v[78:79], v[72:73], s[12:13], v[122:123]
	v_fma_f64 v[72:73], v[72:73], s[0:1], v[84:85]
	v_fma_f64 v[84:85], v[68:69], s[12:13], v[128:129]
	v_fma_f64 v[70:71], v[70:71], s[12:13], v[118:119]
	v_fma_f64 v[68:69], v[68:69], s[0:1], v[132:133]
	v_fma_f64 v[44:45], v[100:101], s[0:1], v[44:45]
	v_fma_f64 v[46:47], v[34:35], s[0:1], v[46:47]
	v_fma_f64 v[60:61], v[114:115], s[0:1], v[60:61]
	v_fma_f64 v[82:83], v[114:115], s[12:13], v[82:83]
	v_add_f64 v[10:11], v[42:43], v[50:51]
	v_fma_f64 v[114:115], v[54:55], s[12:13], v[36:37]
	v_fma_f64 v[50:51], v[124:125], s[12:13], v[136:137]
	v_add_f64 v[8:9], v[40:41], v[48:49]
	v_fma_f64 v[48:49], v[100:101], s[12:13], v[96:97]
	v_fma_f64 v[98:99], v[124:125], s[0:1], v[98:99]
	v_add_f64 v[14:15], v[58:59], v[66:67]
	v_fma_f64 v[36:37], v[86:87], s[6:7], v[76:77]
	buffer_load_dword v76, off, s[28:31], 0 offset:600 ; 4-byte Folded Reload
	v_fma_f64 v[100:101], v[32:33], s[12:13], v[138:139]
	v_fma_f64 v[96:97], v[34:35], s[12:13], v[134:135]
	;; [unrolled: 1-line block ×18, first 2 shown]
	v_add_f64 v[12:13], v[56:57], v[64:65]
	v_fma_f64 v[48:49], v[116:117], s[6:7], v[48:49]
	v_fma_f64 v[50:51], v[126:127], s[6:7], v[98:99]
	;; [unrolled: 1-line block ×11, first 2 shown]
	s_waitcnt vmcnt(0)
	ds_write_b128 v76, v[4:7]
	ds_write_b128 v76, v[28:31] offset:432
	ds_write_b128 v76, v[36:39] offset:864
	;; [unrolled: 1-line block ×4, first 2 shown]
	ds_write_b128 v105, v[8:11]
	ds_write_b128 v105, v[44:47] offset:432
	ds_write_b128 v105, v[52:55] offset:864
	;; [unrolled: 1-line block ×4, first 2 shown]
	buffer_load_dword v4, off, s[28:31], 0 offset:636 ; 4-byte Folded Reload
	v_fma_f64 v[68:69], v[90:91], s[6:7], v[62:63]
	v_fma_f64 v[62:63], v[94:95], s[6:7], v[92:93]
	s_waitcnt vmcnt(0)
	ds_write_b128 v4, v[12:15]
	ds_write_b128 v4, v[64:67] offset:432
	ds_write_b128 v4, v[68:71] offset:864
	;; [unrolled: 1-line block ×4, first 2 shown]
	s_waitcnt lgkmcnt(0)
	s_barrier
	buffer_gl0_inv
	ds_read_b128 v[32:35], v104
	ds_read_b128 v[28:31], v104 offset:1008
	ds_read_b128 v[88:91], v104 offset:2160
	;; [unrolled: 1-line block ×13, first 2 shown]
	s_and_saveexec_b32 s0, vcc_lo
	s_cbranch_execz .LBB0_7
; %bb.6:
	ds_read_b128 v[60:63], v104 offset:2016
	ds_read_b128 v[16:19], v104 offset:4176
	;; [unrolled: 1-line block ×3, first 2 shown]
	s_waitcnt lgkmcnt(0)
	buffer_store_dword v4, off, s[28:31], 0 offset:36 ; 4-byte Folded Spill
	buffer_store_dword v5, off, s[28:31], 0 offset:40 ; 4-byte Folded Spill
	buffer_store_dword v6, off, s[28:31], 0 offset:44 ; 4-byte Folded Spill
	buffer_store_dword v7, off, s[28:31], 0 offset:48 ; 4-byte Folded Spill
	ds_read_b128 v[4:7], v104 offset:8496
	s_waitcnt lgkmcnt(0)
	buffer_store_dword v4, off, s[28:31], 0 offset:4 ; 4-byte Folded Spill
	buffer_store_dword v5, off, s[28:31], 0 offset:8 ; 4-byte Folded Spill
	buffer_store_dword v6, off, s[28:31], 0 offset:12 ; 4-byte Folded Spill
	buffer_store_dword v7, off, s[28:31], 0 offset:16 ; 4-byte Folded Spill
	ds_read_b128 v[4:7], v104 offset:10656
	;; [unrolled: 6-line block ×3, first 2 shown]
	ds_read_b128 v[24:27], v104 offset:14976
.LBB0_7:
	s_or_b32 exec_lo, exec_lo, s0
	s_waitcnt lgkmcnt(11)
	v_mul_f64 v[4:5], v[158:159], v[90:91]
	v_mul_f64 v[6:7], v[158:159], v[88:89]
	s_waitcnt lgkmcnt(9)
	v_mul_f64 v[8:9], v[250:251], v[94:95]
	v_mul_f64 v[10:11], v[250:251], v[92:93]
	;; [unrolled: 3-line block ×3, first 2 shown]
	v_mul_f64 v[14:15], v[254:255], v[98:99]
	v_mul_f64 v[44:45], v[254:255], v[96:97]
	;; [unrolled: 1-line block ×9, first 2 shown]
	s_mov_b32 s6, 0x37e14327
	s_mov_b32 s0, 0x36b3c0b5
	;; [unrolled: 1-line block ×7, first 2 shown]
	v_fma_f64 v[4:5], v[156:157], v[88:89], v[4:5]
	v_fma_f64 v[6:7], v[156:157], v[90:91], -v[6:7]
	v_fma_f64 v[8:9], v[248:249], v[92:93], v[8:9]
	v_fma_f64 v[10:11], v[248:249], v[94:95], -v[10:11]
	;; [unrolled: 2-line block ×4, first 2 shown]
	v_mul_f64 v[44:45], v[238:239], v[66:67]
	v_mul_f64 v[96:97], v[242:243], v[74:75]
	;; [unrolled: 1-line block ×3, first 2 shown]
	s_waitcnt lgkmcnt(0)
	v_mul_f64 v[100:101], v[246:247], v[78:79]
	v_mul_f64 v[102:103], v[246:247], v[76:77]
	v_fma_f64 v[46:47], v[220:221], v[80:81], v[46:47]
	v_fma_f64 v[50:51], v[224:225], v[84:85], v[50:51]
	v_mul_f64 v[88:89], v[234:235], v[38:39]
	v_mul_f64 v[90:91], v[234:235], v[36:37]
	;; [unrolled: 1-line block ×4, first 2 shown]
	v_fma_f64 v[48:49], v[220:221], v[82:83], -v[48:49]
	v_fma_f64 v[52:53], v[224:225], v[86:87], -v[52:53]
	v_fma_f64 v[54:55], v[216:217], v[68:69], v[54:55]
	v_fma_f64 v[56:57], v[216:217], v[70:71], -v[56:57]
	v_fma_f64 v[58:59], v[236:237], v[66:67], -v[58:59]
	s_mov_b32 s15, 0x3fe77f67
	s_mov_b32 s19, 0xbfe77f67
	v_add_f64 v[80:81], v[4:5], v[12:13]
	v_add_f64 v[82:83], v[6:7], v[0:1]
	v_add_f64 v[84:85], v[8:9], v[2:3]
	v_add_f64 v[86:87], v[10:11], v[14:15]
	v_fma_f64 v[44:45], v[236:237], v[64:65], v[44:45]
	v_fma_f64 v[64:65], v[240:241], v[72:73], v[96:97]
	v_fma_f64 v[66:67], v[240:241], v[74:75], -v[98:99]
	v_fma_f64 v[68:69], v[244:245], v[76:77], v[100:101]
	v_fma_f64 v[70:71], v[244:245], v[78:79], -v[102:103]
	v_add_f64 v[2:3], v[8:9], -v[2:3]
	v_add_f64 v[72:73], v[46:47], v[50:51]
	v_fma_f64 v[36:37], v[232:233], v[36:37], v[88:89]
	v_fma_f64 v[38:39], v[232:233], v[38:39], -v[90:91]
	v_fma_f64 v[40:41], v[228:229], v[40:41], v[92:93]
	v_fma_f64 v[42:43], v[228:229], v[42:43], -v[94:95]
	v_add_f64 v[8:9], v[10:11], -v[14:15]
	v_add_f64 v[74:75], v[48:49], v[52:53]
	v_add_f64 v[10:11], v[50:51], -v[46:47]
	v_add_f64 v[14:15], v[52:53], -v[48:49]
	;; [unrolled: 1-line block ×4, first 2 shown]
	s_mov_b32 s18, s14
	s_mov_b32 s4, 0x429ad128
	;; [unrolled: 1-line block ×3, first 2 shown]
	v_add_f64 v[76:77], v[84:85], v[80:81]
	v_add_f64 v[78:79], v[86:87], v[82:83]
	s_mov_b32 s20, 0xb247c609
	v_add_f64 v[52:53], v[44:45], v[64:65]
	v_add_f64 v[44:45], v[44:45], -v[64:65]
	v_add_f64 v[12:13], v[54:55], v[68:69]
	v_add_f64 v[46:47], v[56:57], v[70:71]
	v_add_f64 v[48:49], v[54:55], -v[68:69]
	v_add_f64 v[54:55], v[58:59], v[66:67]
	v_add_f64 v[0:1], v[80:81], -v[72:73]
	v_add_f64 v[68:69], v[72:73], -v[84:85]
	;; [unrolled: 1-line block ×4, first 2 shown]
	v_add_f64 v[66:67], v[36:37], v[40:41]
	v_add_f64 v[56:57], v[82:83], -v[74:75]
	v_add_f64 v[70:71], v[74:75], -v[86:87]
	;; [unrolled: 1-line block ×4, first 2 shown]
	s_mov_b32 s21, 0xbfd5d0dc
	s_mov_b32 s12, 0xaaaaaaaa
	;; [unrolled: 1-line block ×4, first 2 shown]
	v_add_f64 v[64:65], v[72:73], v[76:77]
	v_add_f64 v[72:73], v[74:75], v[78:79]
	;; [unrolled: 1-line block ×3, first 2 shown]
	v_add_f64 v[38:39], v[42:43], -v[38:39]
	v_add_f64 v[78:79], v[86:87], -v[82:83]
	v_add_f64 v[86:87], v[52:53], v[12:13]
	v_add_f64 v[76:77], v[84:85], -v[80:81]
	v_add_f64 v[42:43], v[14:15], -v[8:9]
	v_add_f64 v[88:89], v[54:55], v[46:47]
	v_mul_f64 v[90:91], v[0:1], s[6:7]
	v_mul_f64 v[92:93], v[68:69], s[0:1]
	v_add_f64 v[82:83], v[14:15], v[8:9]
	v_add_f64 v[84:85], v[2:3], -v[4:5]
	v_add_f64 v[8:9], v[8:9], -v[6:7]
	v_add_f64 v[80:81], v[10:11], v[2:3]
	v_add_f64 v[96:97], v[66:67], -v[52:53]
	v_add_f64 v[100:101], v[36:37], -v[44:45]
	v_mul_f64 v[56:57], v[56:57], s[6:7]
	v_mul_f64 v[94:95], v[70:71], s[0:1]
	v_add_f64 v[10:11], v[4:5], -v[10:11]
	v_mul_f64 v[40:41], v[40:41], s[16:17]
	v_add_f64 v[14:15], v[6:7], -v[14:15]
	v_add_f64 v[0:1], v[32:33], v[64:65]
	v_add_f64 v[2:3], v[34:35], v[72:73]
	v_add_f64 v[32:33], v[12:13], -v[66:67]
	v_add_f64 v[34:35], v[46:47], -v[74:75]
	;; [unrolled: 1-line block ×4, first 2 shown]
	v_add_f64 v[66:67], v[66:67], v[86:87]
	v_mul_f64 v[42:43], v[42:43], s[16:17]
	v_add_f64 v[74:75], v[74:75], v[88:89]
	v_fma_f64 v[68:69], v[68:69], s[0:1], v[90:91]
	v_fma_f64 v[86:87], v[76:77], s[14:15], -v[92:93]
	v_fma_f64 v[76:77], v[76:77], s[18:19], -v[90:91]
	v_add_f64 v[90:91], v[44:45], -v[48:49]
	v_add_f64 v[92:93], v[58:59], -v[50:51]
	v_mul_f64 v[105:106], v[84:85], s[4:5]
	v_mul_f64 v[107:108], v[8:9], s[4:5]
	v_add_f64 v[80:81], v[80:81], v[4:5]
	v_add_f64 v[82:83], v[82:83], v[6:7]
	v_add_f64 v[12:13], v[52:53], -v[12:13]
	v_add_f64 v[46:47], v[54:55], -v[46:47]
	v_add_f64 v[44:45], v[36:37], v[44:45]
	v_add_f64 v[52:53], v[38:39], v[58:59]
	v_add_f64 v[36:37], v[48:49], -v[36:37]
	v_add_f64 v[38:39], v[50:51], -v[38:39]
	v_mul_f64 v[58:59], v[100:101], s[16:17]
	v_fma_f64 v[70:71], v[70:71], s[0:1], v[56:57]
	v_fma_f64 v[88:89], v[78:79], s[14:15], -v[94:95]
	v_mul_f64 v[54:55], v[102:103], s[16:17]
	v_add_f64 v[4:5], v[28:29], v[66:67]
	v_mul_f64 v[28:29], v[32:33], s[6:7]
	v_add_f64 v[6:7], v[30:31], v[74:75]
	v_mul_f64 v[30:31], v[34:35], s[6:7]
	v_mul_f64 v[32:33], v[96:97], s[0:1]
	;; [unrolled: 1-line block ×3, first 2 shown]
	v_fma_f64 v[56:57], v[78:79], s[18:19], -v[56:57]
	v_fma_f64 v[78:79], v[10:11], s[20:21], v[40:41]
	v_fma_f64 v[40:41], v[84:85], s[4:5], -v[40:41]
	v_mul_f64 v[84:85], v[92:93], s[4:5]
	v_mul_f64 v[100:101], v[90:91], s[4:5]
	s_mov_b32 s22, s20
	v_fma_f64 v[64:65], v[64:65], s[12:13], v[0:1]
	v_fma_f64 v[72:73], v[72:73], s[12:13], v[2:3]
	;; [unrolled: 1-line block ×3, first 2 shown]
	v_fma_f64 v[10:11], v[10:11], s[22:23], -v[105:106]
	v_fma_f64 v[14:15], v[14:15], s[22:23], -v[107:108]
	;; [unrolled: 1-line block ×3, first 2 shown]
	v_add_f64 v[44:45], v[44:45], v[48:49]
	v_add_f64 v[48:49], v[52:53], v[50:51]
	s_mov_b32 s24, 0x37c3f68c
	s_mov_b32 s25, 0xbfdc38aa
	v_fma_f64 v[50:51], v[66:67], s[12:13], v[4:5]
	v_fma_f64 v[66:67], v[96:97], s[0:1], v[28:29]
	;; [unrolled: 1-line block ×4, first 2 shown]
	v_fma_f64 v[32:33], v[12:13], s[14:15], -v[32:33]
	v_fma_f64 v[34:35], v[46:47], s[14:15], -v[34:35]
	;; [unrolled: 1-line block ×4, first 2 shown]
	v_fma_f64 v[30:31], v[38:39], s[20:21], v[54:55]
	v_fma_f64 v[46:47], v[36:37], s[20:21], v[58:59]
	v_fma_f64 v[38:39], v[38:39], s[22:23], -v[84:85]
	v_fma_f64 v[36:37], v[36:37], s[22:23], -v[100:101]
	;; [unrolled: 1-line block ×4, first 2 shown]
	v_add_f64 v[42:43], v[68:69], v[64:65]
	v_add_f64 v[68:69], v[70:71], v[72:73]
	;; [unrolled: 1-line block ×6, first 2 shown]
	v_fma_f64 v[72:73], v[82:83], s[24:25], v[94:95]
	v_fma_f64 v[76:77], v[80:81], s[24:25], v[78:79]
	;; [unrolled: 1-line block ×6, first 2 shown]
	v_add_f64 v[80:81], v[66:67], v[50:51]
	v_add_f64 v[74:75], v[74:75], v[52:53]
	;; [unrolled: 1-line block ×4, first 2 shown]
	v_fma_f64 v[94:95], v[48:49], s[24:25], v[30:31]
	v_fma_f64 v[96:97], v[44:45], s[24:25], v[46:47]
	;; [unrolled: 1-line block ×4, first 2 shown]
	v_add_f64 v[66:67], v[32:33], v[50:51]
	v_add_f64 v[88:89], v[34:35], v[52:53]
	v_fma_f64 v[102:103], v[48:49], s[24:25], v[54:55]
	v_fma_f64 v[58:59], v[44:45], s[24:25], v[58:59]
	v_add_f64 v[8:9], v[72:73], v[42:43]
	v_add_f64 v[10:11], v[68:69], -v[76:77]
	v_add_f64 v[12:13], v[78:79], v[64:65]
	v_add_f64 v[14:15], v[56:57], -v[84:85]
	v_add_f64 v[28:29], v[70:71], -v[82:83]
	v_add_f64 v[30:31], v[40:41], v[86:87]
	v_add_f64 v[32:33], v[82:83], v[70:71]
	v_add_f64 v[34:35], v[86:87], -v[40:41]
	v_add_f64 v[36:37], v[64:65], -v[78:79]
	v_add_f64 v[38:39], v[84:85], v[56:57]
	v_add_f64 v[40:41], v[42:43], -v[72:73]
	v_add_f64 v[42:43], v[76:77], v[68:69]
	v_add_f64 v[44:45], v[94:95], v[80:81]
	v_add_f64 v[46:47], v[74:75], -v[96:97]
	v_add_f64 v[48:49], v[98:99], v[90:91]
	v_add_f64 v[50:51], v[92:93], -v[100:101]
	v_add_f64 v[52:53], v[66:67], -v[102:103]
	v_add_f64 v[54:55], v[58:59], v[88:89]
	v_add_f64 v[56:57], v[102:103], v[66:67]
	v_add_f64 v[58:59], v[88:89], -v[58:59]
	v_add_f64 v[64:65], v[90:91], -v[98:99]
	v_add_f64 v[66:67], v[100:101], v[92:93]
	v_add_f64 v[68:69], v[80:81], -v[94:95]
	v_add_f64 v[70:71], v[96:97], v[74:75]
	ds_write_b128 v104, v[0:3]
	ds_write_b128 v104, v[8:11] offset:2160
	ds_write_b128 v104, v[12:15] offset:4320
	;; [unrolled: 1-line block ×13, first 2 shown]
	s_and_saveexec_b32 s26, vcc_lo
	s_cbranch_execz .LBB0_9
; %bb.8:
	s_clause 0x13
	buffer_load_dword v54, off, s[28:31], 0 offset:720
	buffer_load_dword v55, off, s[28:31], 0 offset:724
	;; [unrolled: 1-line block ×20, first 2 shown]
	s_waitcnt vmcnt(16)
	v_mul_f64 v[0:1], v[56:57], v[24:25]
	s_waitcnt vmcnt(12)
	v_mul_f64 v[2:3], v[38:39], v[16:17]
	v_mul_f64 v[8:9], v[38:39], v[18:19]
	;; [unrolled: 1-line block ×3, first 2 shown]
	s_clause 0xf
	buffer_load_dword v38, off, s[28:31], 0 offset:656
	buffer_load_dword v39, off, s[28:31], 0 offset:660
	;; [unrolled: 1-line block ×16, first 2 shown]
	s_waitcnt vmcnt(24)
	v_mul_f64 v[4:5], v[52:53], v[20:21]
	s_waitcnt vmcnt(18)
	v_mul_f64 v[6:7], v[48:49], v[68:69]
	;; [unrolled: 2-line block ×3, first 2 shown]
	v_mul_f64 v[14:15], v[52:53], v[22:23]
	v_fma_f64 v[0:1], v[54:55], v[26:27], -v[0:1]
	v_fma_f64 v[2:3], v[36:37], v[18:19], -v[2:3]
	v_fma_f64 v[8:9], v[36:37], v[16:17], v[8:9]
	v_fma_f64 v[10:11], v[54:55], v[24:25], v[10:11]
	v_fma_f64 v[4:5], v[50:51], v[22:23], -v[4:5]
	v_fma_f64 v[6:7], v[46:47], v[70:71], -v[6:7]
	v_fma_f64 v[12:13], v[46:47], v[68:69], v[12:13]
	v_fma_f64 v[14:15], v[50:51], v[20:21], v[14:15]
	v_add_f64 v[24:25], v[2:3], v[0:1]
	v_add_f64 v[26:27], v[6:7], v[4:5]
	v_add_f64 v[4:5], v[6:7], -v[4:5]
	v_add_f64 v[6:7], v[2:3], -v[0:1]
	s_waitcnt vmcnt(8)
	v_mul_f64 v[28:29], v[40:41], v[66:67]
	s_waitcnt vmcnt(0)
	v_mul_f64 v[30:31], v[44:45], v[58:59]
	v_mul_f64 v[32:33], v[44:45], v[56:57]
	;; [unrolled: 1-line block ×3, first 2 shown]
	v_fma_f64 v[16:17], v[38:39], v[64:65], v[28:29]
	v_fma_f64 v[18:19], v[42:43], v[56:57], v[30:31]
	v_fma_f64 v[20:21], v[42:43], v[58:59], -v[32:33]
	v_fma_f64 v[22:23], v[38:39], v[66:67], -v[34:35]
	v_add_f64 v[28:29], v[8:9], v[10:11]
	v_add_f64 v[30:31], v[12:13], v[14:15]
	v_add_f64 v[12:13], v[12:13], -v[14:15]
	v_add_f64 v[8:9], v[8:9], -v[10:11]
	v_add_f64 v[10:11], v[26:27], v[24:25]
	v_add_f64 v[38:39], v[4:5], -v[6:7]
	v_add_f64 v[32:33], v[16:17], -v[18:19]
	v_add_f64 v[16:17], v[18:19], v[16:17]
	v_add_f64 v[14:15], v[20:21], v[22:23]
	v_add_f64 v[18:19], v[22:23], -v[20:21]
	v_add_f64 v[0:1], v[30:31], v[28:29]
	v_add_f64 v[34:35], v[12:13], -v[8:9]
	v_mul_f64 v[46:47], v[38:39], s[4:5]
	v_add_f64 v[2:3], v[32:33], -v[12:13]
	v_add_f64 v[22:23], v[28:29], -v[16:17]
	;; [unrolled: 1-line block ×3, first 2 shown]
	v_add_f64 v[10:11], v[14:15], v[10:11]
	v_add_f64 v[14:15], v[14:15], -v[26:27]
	v_add_f64 v[36:37], v[18:19], -v[4:5]
	v_add_f64 v[40:41], v[16:17], v[0:1]
	v_add_f64 v[16:17], v[16:17], -v[30:31]
	v_add_f64 v[42:43], v[8:9], -v[32:33]
	v_add_f64 v[12:13], v[32:33], v[12:13]
	v_add_f64 v[4:5], v[18:19], v[4:5]
	v_mul_f64 v[44:45], v[34:35], s[4:5]
	v_add_f64 v[18:19], v[6:7], -v[18:19]
	v_add_f64 v[24:25], v[26:27], -v[24:25]
	;; [unrolled: 1-line block ×3, first 2 shown]
	v_mul_f64 v[32:33], v[2:3], s[16:17]
	v_mul_f64 v[22:23], v[22:23], s[6:7]
	;; [unrolled: 1-line block ×3, first 2 shown]
	v_add_f64 v[2:3], v[62:63], v[10:11]
	v_mul_f64 v[26:27], v[14:15], s[0:1]
	v_mul_f64 v[36:37], v[36:37], s[16:17]
	v_add_f64 v[0:1], v[60:61], v[40:41]
	v_mul_f64 v[30:31], v[16:17], s[0:1]
	v_add_f64 v[8:9], v[12:13], v[8:9]
	v_add_f64 v[4:5], v[4:5], v[6:7]
	v_fma_f64 v[6:7], v[42:43], s[20:21], v[32:33]
	v_fma_f64 v[32:33], v[34:35], s[4:5], -v[32:33]
	v_fma_f64 v[12:13], v[14:15], s[0:1], v[20:21]
	v_fma_f64 v[14:15], v[16:17], s[0:1], v[22:23]
	v_fma_f64 v[16:17], v[42:43], s[22:23], -v[44:45]
	v_fma_f64 v[10:11], v[10:11], s[12:13], v[2:3]
	v_fma_f64 v[20:21], v[24:25], s[18:19], -v[20:21]
	v_fma_f64 v[24:25], v[24:25], s[14:15], -v[26:27]
	v_fma_f64 v[26:27], v[18:19], s[20:21], v[36:37]
	v_fma_f64 v[18:19], v[18:19], s[22:23], -v[46:47]
	;; [unrolled: 3-line block ×3, first 2 shown]
	v_fma_f64 v[28:29], v[28:29], s[14:15], -v[30:31]
	v_fma_f64 v[30:31], v[8:9], s[24:25], v[6:7]
	v_fma_f64 v[16:17], v[8:9], s[24:25], v[16:17]
	;; [unrolled: 1-line block ×3, first 2 shown]
	v_add_f64 v[12:13], v[12:13], v[10:11]
	v_add_f64 v[24:25], v[24:25], v[10:11]
	v_fma_f64 v[32:33], v[4:5], s[24:25], v[26:27]
	v_fma_f64 v[38:39], v[4:5], s[24:25], v[18:19]
	;; [unrolled: 1-line block ×3, first 2 shown]
	v_add_f64 v[34:35], v[14:15], v[36:37]
	v_add_f64 v[20:21], v[20:21], v[10:11]
	;; [unrolled: 1-line block ×4, first 2 shown]
	v_add_f64 v[26:27], v[12:13], -v[30:31]
	v_add_f64 v[14:15], v[24:25], -v[8:9]
	v_add_f64 v[18:19], v[8:9], v[24:25]
	v_add_f64 v[6:7], v[30:31], v[12:13]
	;; [unrolled: 1-line block ×4, first 2 shown]
	v_add_f64 v[22:23], v[20:21], -v[16:17]
	v_add_f64 v[20:21], v[38:39], v[40:41]
	v_add_f64 v[16:17], v[28:29], -v[4:5]
	v_add_f64 v[12:13], v[4:5], v[28:29]
	v_add_f64 v[8:9], v[40:41], -v[38:39]
	v_add_f64 v[4:5], v[34:35], -v[32:33]
	ds_write_b128 v104, v[0:3] offset:2016
	ds_write_b128 v104, v[24:27] offset:4176
	;; [unrolled: 1-line block ×7, first 2 shown]
.LBB0_9:
	s_or_b32 exec_lo, exec_lo, s26
	s_waitcnt lgkmcnt(0)
	s_waitcnt_vscnt null, 0x0
	s_barrier
	buffer_gl0_inv
	ds_read_b128 v[0:3], v104
	ds_read_b128 v[4:7], v104 offset:5040
	ds_read_b128 v[8:11], v104 offset:10080
	s_clause 0x2
	buffer_load_dword v12, off, s[28:31], 0 offset:52
	buffer_load_dword v13, off, s[28:31], 0 offset:56
	buffer_load_dword v31, off, s[28:31], 0
	s_mov_b32 s0, 0xbc011567
	s_mov_b32 s1, 0x3f51566a
	s_mul_i32 s4, s9, 0x13b0
	s_mul_hi_u32 s5, s8, 0x13b0
	s_mul_i32 s6, s8, 0x13b0
	s_add_i32 s5, s5, s4
	s_waitcnt vmcnt(2)
	v_mov_b32_e32 v30, v12
	s_waitcnt vmcnt(1)
	ds_read_b128 v[12:15], v104 offset:1008
	ds_read_b128 v[16:19], v104 offset:6048
	;; [unrolled: 1-line block ×3, first 2 shown]
	s_clause 0x7
	buffer_load_dword v56, off, s[28:31], 0 offset:60
	buffer_load_dword v57, off, s[28:31], 0 offset:64
	;; [unrolled: 1-line block ×8, first 2 shown]
	s_waitcnt vmcnt(8)
	v_mad_u64_u32 v[34:35], null, s8, v31, 0
	v_mad_u64_u32 v[32:33], null, s10, v30, 0
	ds_read_b128 v[24:27], v104 offset:11088
	v_mov_b32_e32 v29, v35
	v_mov_b32_e32 v28, v33
	v_mad_u64_u32 v[48:49], null, s11, v30, v[28:29]
	v_mad_u64_u32 v[49:50], null, s9, v31, v[29:30]
	v_mov_b32_e32 v33, v48
	v_mov_b32_e32 v35, v49
	s_waitcnt vmcnt(4) lgkmcnt(6)
	v_mul_f64 v[36:37], v[58:59], v[2:3]
	v_mul_f64 v[38:39], v[58:59], v[0:1]
	s_waitcnt vmcnt(0) lgkmcnt(5)
	v_mul_f64 v[40:41], v[64:65], v[6:7]
	v_mul_f64 v[42:43], v[64:65], v[4:5]
	s_clause 0x3
	buffer_load_dword v58, off, s[28:31], 0 offset:92
	buffer_load_dword v59, off, s[28:31], 0 offset:96
	;; [unrolled: 1-line block ×4, first 2 shown]
	ds_read_b128 v[28:31], v104 offset:7056
	s_clause 0x3
	buffer_load_dword v64, off, s[28:31], 0 offset:124
	buffer_load_dword v65, off, s[28:31], 0 offset:128
	;; [unrolled: 1-line block ×4, first 2 shown]
	v_fma_f64 v[36:37], v[56:57], v[0:1], v[36:37]
	v_fma_f64 v[38:39], v[56:57], v[2:3], -v[38:39]
	v_fma_f64 v[40:41], v[62:63], v[4:5], v[40:41]
	v_fma_f64 v[42:43], v[62:63], v[6:7], -v[42:43]
	v_lshlrev_b64 v[6:7], 4, v[34:35]
	v_lshlrev_b64 v[4:5], 4, v[32:33]
	v_add_co_u32 v4, vcc_lo, s2, v4
	v_add_co_ci_u32_e32 v5, vcc_lo, s3, v5, vcc_lo
	s_mul_hi_u32 s2, s8, 0xffffdc90
	s_mul_i32 s3, s9, 0xffffdc90
	s_sub_i32 s2, s2, s8
	s_add_i32 s2, s2, s3
	s_mul_i32 s3, s8, 0xffffdc90
	s_waitcnt vmcnt(4) lgkmcnt(5)
	v_mul_f64 v[46:47], v[60:61], v[8:9]
	v_mul_f64 v[44:45], v[60:61], v[10:11]
	s_waitcnt vmcnt(0) lgkmcnt(4)
	v_mul_f64 v[50:51], v[66:67], v[14:15]
	v_mul_f64 v[52:53], v[66:67], v[12:13]
	s_clause 0x3
	buffer_load_dword v66, off, s[28:31], 0 offset:140
	buffer_load_dword v67, off, s[28:31], 0 offset:144
	;; [unrolled: 1-line block ×4, first 2 shown]
	ds_read_b128 v[0:3], v104 offset:2016
	v_fma_f64 v[34:35], v[58:59], v[10:11], -v[46:47]
	v_fma_f64 v[32:33], v[58:59], v[8:9], v[44:45]
	v_fma_f64 v[46:47], v[64:65], v[12:13], v[50:51]
	v_fma_f64 v[50:51], v[64:65], v[14:15], -v[52:53]
	s_clause 0x3
	buffer_load_dword v62, off, s[28:31], 0 offset:76
	buffer_load_dword v63, off, s[28:31], 0 offset:80
	;; [unrolled: 1-line block ×4, first 2 shown]
	v_add_co_u32 v44, vcc_lo, v4, v6
	v_add_co_ci_u32_e32 v45, vcc_lo, v5, v7, vcc_lo
	v_mul_f64 v[6:7], v[38:39], s[0:1]
	v_mul_f64 v[8:9], v[40:41], s[0:1]
	v_mul_f64 v[10:11], v[42:43], s[0:1]
	v_mul_f64 v[4:5], v[36:37], s[0:1]
	v_mul_f64 v[14:15], v[34:35], s[0:1]
	v_mul_f64 v[12:13], v[32:33], s[0:1]
	v_mul_f64 v[32:33], v[46:47], s[0:1]
	v_mul_f64 v[34:35], v[50:51], s[0:1]
	s_waitcnt vmcnt(4) lgkmcnt(4)
	v_mul_f64 v[54:55], v[68:69], v[18:19]
	v_mul_f64 v[48:49], v[68:69], v[16:17]
	v_fma_f64 v[52:53], v[66:67], v[16:17], v[54:55]
	v_fma_f64 v[38:39], v[66:67], v[18:19], -v[48:49]
	s_waitcnt vmcnt(0) lgkmcnt(2)
	v_mul_f64 v[40:41], v[64:65], v[26:27]
	v_mul_f64 v[48:49], v[64:65], v[24:25]
	ds_read_b128 v[16:19], v104 offset:3024
	s_clause 0x3
	buffer_load_dword v64, off, s[28:31], 0 offset:268
	buffer_load_dword v65, off, s[28:31], 0 offset:272
	;; [unrolled: 1-line block ×4, first 2 shown]
	v_add_co_u32 v54, vcc_lo, v44, s6
	v_add_co_ci_u32_e32 v55, vcc_lo, s5, v45, vcc_lo
	v_add_co_u32 v60, vcc_lo, v54, s6
	v_add_co_ci_u32_e32 v61, vcc_lo, s5, v55, vcc_lo
	;; [unrolled: 2-line block ×3, first 2 shown]
	v_mul_f64 v[36:37], v[52:53], s[0:1]
	v_mul_f64 v[38:39], v[38:39], s[0:1]
	v_fma_f64 v[24:25], v[62:63], v[24:25], v[40:41]
	ds_read_b128 v[40:43], v104 offset:12096
	v_fma_f64 v[26:27], v[62:63], v[26:27], -v[48:49]
	s_waitcnt vmcnt(0) lgkmcnt(2)
	v_mul_f64 v[56:57], v[66:67], v[2:3]
	v_mul_f64 v[58:59], v[66:67], v[0:1]
	v_fma_f64 v[48:49], v[64:65], v[0:1], v[56:57]
	v_fma_f64 v[50:51], v[64:65], v[2:3], -v[58:59]
	s_clause 0x3
	buffer_load_dword v62, off, s[28:31], 0 offset:188
	buffer_load_dword v63, off, s[28:31], 0 offset:192
	;; [unrolled: 1-line block ×4, first 2 shown]
	v_add_co_u32 v58, vcc_lo, v46, s6
	v_add_co_ci_u32_e32 v59, vcc_lo, s5, v47, vcc_lo
	global_store_dwordx4 v[44:45], v[4:7], off
	global_store_dwordx4 v[54:55], v[8:11], off
	global_store_dwordx4 v[60:61], v[12:15], off
	global_store_dwordx4 v[46:47], v[32:35], off
	global_store_dwordx4 v[58:59], v[36:39], off
	ds_read_b128 v[0:3], v104 offset:13104
	v_mul_f64 v[8:9], v[24:25], s[0:1]
	v_add_co_u32 v44, vcc_lo, v58, s6
	v_add_co_ci_u32_e32 v45, vcc_lo, s5, v59, vcc_lo
	v_mul_f64 v[10:11], v[26:27], s[0:1]
	v_mul_f64 v[24:25], v[48:49], s[0:1]
	;; [unrolled: 1-line block ×3, first 2 shown]
	v_add_co_u32 v50, vcc_lo, v44, s3
	v_add_co_ci_u32_e32 v51, vcc_lo, s2, v45, vcc_lo
	s_waitcnt vmcnt(0)
	v_mul_f64 v[52:53], v[64:65], v[30:31]
	v_mul_f64 v[56:57], v[64:65], v[28:29]
	s_clause 0x3
	buffer_load_dword v64, off, s[28:31], 0 offset:204
	buffer_load_dword v65, off, s[28:31], 0 offset:208
	;; [unrolled: 1-line block ×4, first 2 shown]
	ds_read_b128 v[4:7], v104 offset:8064
	ds_read_b128 v[12:15], v104 offset:9072
	;; [unrolled: 1-line block ×3, first 2 shown]
	s_clause 0x3
	buffer_load_dword v68, off, s[28:31], 0 offset:156
	buffer_load_dword v69, off, s[28:31], 0 offset:160
	;; [unrolled: 1-line block ×4, first 2 shown]
	v_fma_f64 v[28:29], v[62:63], v[28:29], v[52:53]
	v_fma_f64 v[30:31], v[62:63], v[30:31], -v[56:57]
	s_waitcnt vmcnt(4) lgkmcnt(4)
	v_mul_f64 v[36:37], v[66:67], v[42:43]
	v_mul_f64 v[38:39], v[66:67], v[40:41]
	s_waitcnt vmcnt(0)
	v_mul_f64 v[46:47], v[70:71], v[18:19]
	v_mul_f64 v[48:49], v[70:71], v[16:17]
	s_clause 0x3
	buffer_load_dword v70, off, s[28:31], 0 offset:172
	buffer_load_dword v71, off, s[28:31], 0 offset:176
	;; [unrolled: 1-line block ×4, first 2 shown]
	v_fma_f64 v[36:37], v[64:65], v[40:41], v[36:37]
	v_fma_f64 v[38:39], v[64:65], v[42:43], -v[38:39]
	v_fma_f64 v[16:17], v[68:69], v[16:17], v[46:47]
	v_fma_f64 v[18:19], v[68:69], v[18:19], -v[48:49]
	s_waitcnt vmcnt(0) lgkmcnt(2)
	v_mul_f64 v[52:53], v[72:73], v[6:7]
	v_mul_f64 v[54:55], v[72:73], v[4:5]
	s_clause 0x7
	buffer_load_dword v72, off, s[28:31], 0 offset:220
	buffer_load_dword v73, off, s[28:31], 0 offset:224
	;; [unrolled: 1-line block ×8, first 2 shown]
	s_waitcnt vmcnt(4)
	v_mul_f64 v[40:41], v[74:75], v[2:3]
	v_mul_f64 v[42:43], v[74:75], v[0:1]
	s_clause 0x3
	buffer_load_dword v74, off, s[28:31], 0 offset:236
	buffer_load_dword v75, off, s[28:31], 0 offset:240
	;; [unrolled: 1-line block ×4, first 2 shown]
	s_waitcnt vmcnt(4)
	v_mul_f64 v[56:57], v[80:81], v[22:23]
	v_mul_f64 v[58:59], v[80:81], v[20:21]
	s_clause 0x3
	buffer_load_dword v80, off, s[28:31], 0 offset:284
	buffer_load_dword v81, off, s[28:31], 0 offset:288
	;; [unrolled: 1-line block ×4, first 2 shown]
	global_store_dwordx4 v[44:45], v[8:11], off
	global_store_dwordx4 v[50:51], v[24:27], off
	v_fma_f64 v[24:25], v[70:71], v[4:5], v[52:53]
	v_fma_f64 v[26:27], v[70:71], v[6:7], -v[54:55]
	v_mul_f64 v[8:9], v[28:29], s[0:1]
	v_mul_f64 v[10:11], v[30:31], s[0:1]
	;; [unrolled: 1-line block ×4, first 2 shown]
	v_add_co_u32 v44, vcc_lo, v50, s6
	v_add_co_ci_u32_e32 v45, vcc_lo, s5, v51, vcc_lo
	v_fma_f64 v[28:29], v[72:73], v[0:1], v[40:41]
	v_fma_f64 v[30:31], v[72:73], v[2:3], -v[42:43]
	v_add_co_u32 v40, vcc_lo, v44, s6
	v_fma_f64 v[20:21], v[78:79], v[20:21], v[56:57]
	v_fma_f64 v[22:23], v[78:79], v[22:23], -v[58:59]
	v_add_co_ci_u32_e32 v41, vcc_lo, s5, v45, vcc_lo
	v_add_co_u32 v42, vcc_lo, v40, s3
	v_mul_f64 v[0:1], v[16:17], s[0:1]
	v_add_co_ci_u32_e32 v43, vcc_lo, s2, v41, vcc_lo
	v_mul_f64 v[2:3], v[18:19], s[0:1]
	v_add_co_u32 v46, vcc_lo, v42, s6
	v_add_co_ci_u32_e32 v47, vcc_lo, s5, v43, vcc_lo
	global_store_dwordx4 v[44:45], v[8:11], off
	global_store_dwordx4 v[40:41], v[4:7], off
	v_mul_f64 v[16:17], v[28:29], s[0:1]
	v_mul_f64 v[18:19], v[30:31], s[0:1]
	;; [unrolled: 1-line block ×4, first 2 shown]
	global_store_dwordx4 v[42:43], v[0:3], off
	s_waitcnt vmcnt(4) lgkmcnt(1)
	v_mul_f64 v[60:61], v[76:77], v[14:15]
	v_mul_f64 v[62:63], v[76:77], v[12:13]
	s_waitcnt vmcnt(0) lgkmcnt(0)
	v_mul_f64 v[64:65], v[82:83], v[34:35]
	v_mul_f64 v[66:67], v[82:83], v[32:33]
	v_fma_f64 v[36:37], v[74:75], v[12:13], v[60:61]
	v_fma_f64 v[38:39], v[74:75], v[14:15], -v[62:63]
	v_mul_f64 v[12:13], v[24:25], s[0:1]
	v_fma_f64 v[32:33], v[80:81], v[32:33], v[64:65]
	v_fma_f64 v[34:35], v[80:81], v[34:35], -v[66:67]
	v_mul_f64 v[14:15], v[26:27], s[0:1]
	v_mul_f64 v[24:25], v[36:37], s[0:1]
	;; [unrolled: 1-line block ×5, first 2 shown]
	v_add_co_u32 v32, vcc_lo, v46, s6
	v_add_co_ci_u32_e32 v33, vcc_lo, s5, v47, vcc_lo
	v_add_co_u32 v8, vcc_lo, v32, s3
	v_add_co_ci_u32_e32 v9, vcc_lo, s2, v33, vcc_lo
	;; [unrolled: 2-line block ×4, first 2 shown]
	global_store_dwordx4 v[46:47], v[12:15], off
	global_store_dwordx4 v[32:33], v[16:19], off
	;; [unrolled: 1-line block ×5, first 2 shown]
.LBB0_10:
	s_endpgm
	.section	.rodata,"a",@progbits
	.p2align	6, 0x0
	.amdhsa_kernel bluestein_single_fwd_len945_dim1_dp_op_CI_CI
		.amdhsa_group_segment_fixed_size 15120
		.amdhsa_private_segment_fixed_size 740
		.amdhsa_kernarg_size 104
		.amdhsa_user_sgpr_count 6
		.amdhsa_user_sgpr_private_segment_buffer 1
		.amdhsa_user_sgpr_dispatch_ptr 0
		.amdhsa_user_sgpr_queue_ptr 0
		.amdhsa_user_sgpr_kernarg_segment_ptr 1
		.amdhsa_user_sgpr_dispatch_id 0
		.amdhsa_user_sgpr_flat_scratch_init 0
		.amdhsa_user_sgpr_private_segment_size 0
		.amdhsa_wavefront_size32 1
		.amdhsa_uses_dynamic_stack 0
		.amdhsa_system_sgpr_private_segment_wavefront_offset 1
		.amdhsa_system_sgpr_workgroup_id_x 1
		.amdhsa_system_sgpr_workgroup_id_y 0
		.amdhsa_system_sgpr_workgroup_id_z 0
		.amdhsa_system_sgpr_workgroup_info 0
		.amdhsa_system_vgpr_workitem_id 0
		.amdhsa_next_free_vgpr 256
		.amdhsa_next_free_sgpr 32
		.amdhsa_reserve_vcc 1
		.amdhsa_reserve_flat_scratch 0
		.amdhsa_float_round_mode_32 0
		.amdhsa_float_round_mode_16_64 0
		.amdhsa_float_denorm_mode_32 3
		.amdhsa_float_denorm_mode_16_64 3
		.amdhsa_dx10_clamp 1
		.amdhsa_ieee_mode 1
		.amdhsa_fp16_overflow 0
		.amdhsa_workgroup_processor_mode 1
		.amdhsa_memory_ordered 1
		.amdhsa_forward_progress 0
		.amdhsa_shared_vgpr_count 0
		.amdhsa_exception_fp_ieee_invalid_op 0
		.amdhsa_exception_fp_denorm_src 0
		.amdhsa_exception_fp_ieee_div_zero 0
		.amdhsa_exception_fp_ieee_overflow 0
		.amdhsa_exception_fp_ieee_underflow 0
		.amdhsa_exception_fp_ieee_inexact 0
		.amdhsa_exception_int_div_zero 0
	.end_amdhsa_kernel
	.text
.Lfunc_end0:
	.size	bluestein_single_fwd_len945_dim1_dp_op_CI_CI, .Lfunc_end0-bluestein_single_fwd_len945_dim1_dp_op_CI_CI
                                        ; -- End function
	.section	.AMDGPU.csdata,"",@progbits
; Kernel info:
; codeLenInByte = 26100
; NumSgprs: 34
; NumVgprs: 256
; ScratchSize: 740
; MemoryBound: 0
; FloatMode: 240
; IeeeMode: 1
; LDSByteSize: 15120 bytes/workgroup (compile time only)
; SGPRBlocks: 4
; VGPRBlocks: 31
; NumSGPRsForWavesPerEU: 34
; NumVGPRsForWavesPerEU: 256
; Occupancy: 4
; WaveLimiterHint : 1
; COMPUTE_PGM_RSRC2:SCRATCH_EN: 1
; COMPUTE_PGM_RSRC2:USER_SGPR: 6
; COMPUTE_PGM_RSRC2:TRAP_HANDLER: 0
; COMPUTE_PGM_RSRC2:TGID_X_EN: 1
; COMPUTE_PGM_RSRC2:TGID_Y_EN: 0
; COMPUTE_PGM_RSRC2:TGID_Z_EN: 0
; COMPUTE_PGM_RSRC2:TIDIG_COMP_CNT: 0
	.text
	.p2alignl 6, 3214868480
	.fill 48, 4, 3214868480
	.type	__hip_cuid_18d141a8b8cc46f9,@object ; @__hip_cuid_18d141a8b8cc46f9
	.section	.bss,"aw",@nobits
	.globl	__hip_cuid_18d141a8b8cc46f9
__hip_cuid_18d141a8b8cc46f9:
	.byte	0                               ; 0x0
	.size	__hip_cuid_18d141a8b8cc46f9, 1

	.ident	"AMD clang version 19.0.0git (https://github.com/RadeonOpenCompute/llvm-project roc-6.4.0 25133 c7fe45cf4b819c5991fe208aaa96edf142730f1d)"
	.section	".note.GNU-stack","",@progbits
	.addrsig
	.addrsig_sym __hip_cuid_18d141a8b8cc46f9
	.amdgpu_metadata
---
amdhsa.kernels:
  - .args:
      - .actual_access:  read_only
        .address_space:  global
        .offset:         0
        .size:           8
        .value_kind:     global_buffer
      - .actual_access:  read_only
        .address_space:  global
        .offset:         8
        .size:           8
        .value_kind:     global_buffer
      - .actual_access:  read_only
        .address_space:  global
        .offset:         16
        .size:           8
        .value_kind:     global_buffer
      - .actual_access:  read_only
        .address_space:  global
        .offset:         24
        .size:           8
        .value_kind:     global_buffer
      - .actual_access:  read_only
        .address_space:  global
        .offset:         32
        .size:           8
        .value_kind:     global_buffer
      - .offset:         40
        .size:           8
        .value_kind:     by_value
      - .address_space:  global
        .offset:         48
        .size:           8
        .value_kind:     global_buffer
      - .address_space:  global
        .offset:         56
        .size:           8
        .value_kind:     global_buffer
      - .address_space:  global
        .offset:         64
        .size:           8
        .value_kind:     global_buffer
      - .address_space:  global
        .offset:         72
        .size:           8
        .value_kind:     global_buffer
      - .offset:         80
        .size:           4
        .value_kind:     by_value
      - .address_space:  global
        .offset:         88
        .size:           8
        .value_kind:     global_buffer
      - .address_space:  global
        .offset:         96
        .size:           8
        .value_kind:     global_buffer
    .group_segment_fixed_size: 15120
    .kernarg_segment_align: 8
    .kernarg_segment_size: 104
    .language:       OpenCL C
    .language_version:
      - 2
      - 0
    .max_flat_workgroup_size: 63
    .name:           bluestein_single_fwd_len945_dim1_dp_op_CI_CI
    .private_segment_fixed_size: 740
    .sgpr_count:     34
    .sgpr_spill_count: 0
    .symbol:         bluestein_single_fwd_len945_dim1_dp_op_CI_CI.kd
    .uniform_work_group_size: 1
    .uses_dynamic_stack: false
    .vgpr_count:     256
    .vgpr_spill_count: 196
    .wavefront_size: 32
    .workgroup_processor_mode: 1
amdhsa.target:   amdgcn-amd-amdhsa--gfx1030
amdhsa.version:
  - 1
  - 2
...

	.end_amdgpu_metadata
